;; amdgpu-corpus repo=ROCm/aiter kind=harvested arch=n/a opt=n/a

/root/src/amdgpu-assembly/repos/ROCm__aiter/hsa/gfx942/fmoe_2stages/fmoe_stage1_bf16_pertokenFp8_doweight_g1u1_64x128_2tg_pf2.co:	file format elf64-amdgpu

Disassembly of section .text:

0000000000002a00 <_ZN5aiter57fmoe_stage1_bf16_pertokenFp8_doweight_g1u1_64x128_2tg_pf2E>:
	s_and_b32 s1, s1, 0xffff                                   // 000000002A00: 8601FF01 0000FFFF
	s_load_dwordx2 s[8:9], s[0:1], 0x0                         // 000000002A08: C0060200 00000000
	s_load_dwordx2 s[20:21], s[0:1], 0x10                      // 000000002A10: C0060500 00000010
	s_load_dwordx2 s[24:25], s[0:1], 0x20                      // 000000002A18: C0060600 00000020
	s_load_dwordx2 s[48:49], s[0:1], 0x30                      // 000000002A20: C0060C00 00000030
	s_load_dwordx2 s[28:29], s[0:1], 0x40                      // 000000002A28: C0060700 00000040
	s_load_dwordx2 s[32:33], s[0:1], 0x50                      // 000000002A30: C0060800 00000050
	s_load_dwordx2 s[36:37], s[0:1], 0x60                      // 000000002A38: C0060900 00000060
	s_load_dwordx2 s[12:13], s[0:1], 0x70                      // 000000002A40: C0060300 00000070
	s_load_dwordx2 s[44:45], s[0:1], 0x80                      // 000000002A48: C0060B00 00000080
	s_mov_b32 s89, 0                                           // 000000002A50: BED90080
	s_load_dword s64, s[0:1], 0x90                             // 000000002A54: C0021000 00000090
	s_load_dword s65, s[0:1], 0xa0                             // 000000002A5C: C0021040 000000A0
	s_load_dword s66, s[0:1], 0xb0                             // 000000002A64: C0021080 000000B0
	s_load_dword s67, s[0:1], 0xc0                             // 000000002A6C: C00210C0 000000C0
	s_load_dword s68, s[0:1], 0xd0                             // 000000002A74: C0021100 000000D0
	s_load_dword s69, s[0:1], 0xe0                             // 000000002A7C: C0021140 000000E0
	s_load_dword s71, s[0:1], 0xf0                             // 000000002A84: C00211C0 000000F0
	s_load_dword s72, s[0:1], 0x100                            // 000000002A8C: C0021200 00000100
	s_load_dword s74, s[0:1], 0x110                            // 000000002A94: C0021280 00000110
	s_load_dword s76, s[0:1], 0x120                            // 000000002A9C: C0021300 00000120
	s_load_dword s56, s[0:1], 0x130                            // 000000002AA4: C0020E00 00000130
	s_load_dword s88, s[0:1], 0x140                            // 000000002AAC: C0021600 00000140
	s_load_dword s89, s[0:1], 0x150                            // 000000002AB4: C0021640 00000150
	s_load_dwordx2 s[40:41], s[0:1], 0x160                     // 000000002ABC: C0060A00 00000160
	v_lshrrev_b32_e32 v1, 10, v0                               // 000000002AC4: 2002008A
	v_lshrrev_b32_e32 v2, 10, v1                               // 000000002AC8: 2004028A
	v_and_b32_e32 v2, 0x3ff, v2                                // 000000002ACC: 260404FF 000003FF
	v_and_b32_e32 v1, 0x3ff, v1                                // 000000002AD4: 260202FF 000003FF
	v_and_b32_e32 v0, 0x3ff, v0                                // 000000002ADC: 260000FF 000003FF
	v_lshrrev_b32_e32 v3, 6, v0                                // 000000002AE4: 20060086
	v_and_b32_e32 v0, 63, v0                                   // 000000002AE8: 260000BF
	s_mov_b32 s2, s2                                           // 000000002AEC: BE820002
	s_mov_b32 s3, s3                                           // 000000002AF0: BE830003
	s_mov_b32 s4, s4                                           // 000000002AF4: BE840004
	v_readfirstlane_b32 s7, v3                                 // 000000002AF8: 7E0E0503
	s_waitcnt lgkmcnt(0)                                       // 000000002AFC: BF8CC07F
	s_and_b32 s49, s49, 0xffff                                 // 000000002B00: 8631FF31 0000FFFF
	s_load_dword s48, s[48:49], 0x0                            // 000000002B08: C0020C18 00000000
	s_and_b32 s45, s45, 0xffff                                 // 000000002B10: 862DFF2D 0000FFFF
	s_and_b32 s9, s9, 0xffff                                   // 000000002B18: 8609FF09 0000FFFF
	s_mul_i32 s60, s66, s68                                    // 000000002B20: 923C4442
	s_mul_i32 s61, s66, 4                                      // 000000002B24: 923D8442
	s_mov_b32 s22, s60                                         // 000000002B28: BE96003C
	s_mov_b32 s26, -16                                         // 000000002B2C: BE9A00D0
	s_mov_b32 s30, s61                                         // 000000002B30: BE9E003D
	s_mov_b32 s14, 0x100                                       // 000000002B34: BE8E00FF 00000100
	s_mov_b32 s38, -16                                         // 000000002B3C: BEA600D0
	s_mov_b32 s10, -16                                         // 000000002B40: BE8A00D0
	s_mov_b32 s34, 0x200                                       // 000000002B44: BEA200FF 00000200
	s_mov_b32 s23, 0x20000                                     // 000000002B4C: BE9700FF 00020000
	s_mov_b32 s27, 0x20000                                     // 000000002B54: BE9B00FF 00020000
	s_mov_b32 s31, 0x20000                                     // 000000002B5C: BE9F00FF 00020000
	s_mov_b32 s35, 0x20000                                     // 000000002B64: BEA300FF 00020000
	s_mov_b32 s15, 0x20000                                     // 000000002B6C: BE8F00FF 00020000
	s_mov_b32 s39, 0x20000                                     // 000000002B74: BEA700FF 00020000
	s_mov_b32 s11, 0x20000                                     // 000000002B7C: BE8B00FF 00020000
	s_and_b32 s21, s21, 0xffff                                 // 000000002B84: 8615FF15 0000FFFF
	s_and_b32 s25, s25, 0xffff                                 // 000000002B8C: 8619FF19 0000FFFF
	s_and_b32 s29, s29, 0xffff                                 // 000000002B94: 861DFF1D 0000FFFF
	s_and_b32 s33, s33, 0xffff                                 // 000000002B9C: 8621FF21 0000FFFF
	s_and_b32 s13, s13, 0xffff                                 // 000000002BA4: 860DFF0D 0000FFFF
	s_and_b32 s37, s37, 0xffff                                 // 000000002BAC: 8625FF25 0000FFFF
	s_or_b32 s21, s21, 0x40000                                 // 000000002BB4: 8715FF15 00040000
	s_or_b32 s25, s25, 0x40000                                 // 000000002BBC: 8719FF19 00040000
	s_or_b32 s29, s29, 0x40000                                 // 000000002BC4: 871DFF1D 00040000
	s_or_b32 s33, s33, 0x40000                                 // 000000002BCC: 8721FF21 00040000
	s_or_b32 s13, s13, 0x40000                                 // 000000002BD4: 870DFF0D 00040000
	s_or_b32 s37, s37, 0x40000                                 // 000000002BDC: 8725FF25 00040000
	s_mov_b32 s42, -16                                         // 000000002BE4: BEAA00D0
	s_mov_b32 s43, 0x20000                                     // 000000002BE8: BEAB00FF 00020000
	s_and_b32 s41, s41, 0xffff                                 // 000000002BF0: 8629FF29 0000FFFF
	s_or_b32 s41, s41, 0x40000                                 // 000000002BF8: 8729FF29 00040000
	v_accvgpr_write_b32 a95, 0                                 // 000000002C00: D3D9405F 18000080
	v_mov_b32_e32 v123, 0                                      // 000000002C08: 7EF60280
	s_waitcnt lgkmcnt(0)                                       // 000000002C0C: BF8CC07F
	s_mul_i32 s60, s3, 64                                      // 000000002C10: 923CC003
	s_cmp_lt_i32 s60, s48                                      // 000000002C14: BF04303C
	s_cbranch_scc0 label_192B                                  // 000000002C18: BF8418A1
	s_mov_b32 s80, 0                                           // 000000002C1C: BED00080
	s_lshr_b32 s81, s64, s88                                   // 000000002C20: 8F515840
	s_mul_i32 s60, s3, 4                                       // 000000002C24: 923C8403
	s_add_u32 s44, s60, s44                                    // 000000002C28: 802C2C3C
	s_addc_u32 s45, 0, s45                                     // 000000002C2C: 822D2D80
	s_load_dword s5, s[44:45], 0x0                             // 000000002C30: C0020156 00000000
	s_mul_i32 s60, s3, 64                                      // 000000002C38: 923CC003
	s_mul_i32 s60, 4, s60                                      // 000000002C3C: 923C3C84
	s_add_u32 s12, s60, s12                                    // 000000002C40: 800C0C3C
	s_addc_u32 s13, 0, s13                                     // 000000002C44: 820D0D80
	v_and_b32_e32 v4, 15, v0                                   // 000000002C48: 2608008F
	v_lshlrev_b32_e32 v4, 2, v4                                // 000000002C4C: 24080882
	buffer_load_dword v28, v4, s[12:15], 0 offen               // 000000002C50: E0501000 80031C04
	v_add_u32_e32 v4, 64, v4                                   // 000000002C58: 680808C0
	buffer_load_dword v29, v4, s[12:15], 0 offen               // 000000002C5C: E0501000 80031D04
	v_add_u32_e32 v4, 64, v4                                   // 000000002C64: 680808C0
	buffer_load_dword v30, v4, s[12:15], 0 offen               // 000000002C68: E0501000 80031E04
	v_add_u32_e32 v4, 64, v4                                   // 000000002C70: 680808C0
	buffer_load_dword v31, v4, s[12:15], 0 offen               // 000000002C74: E0501000 80031F04
	v_add_u32_e32 v4, 64, v4                                   // 000000002C7C: 680808C0
	s_mul_i32 s60, 4, s7                                       // 000000002C80: 923C0784
	v_lshlrev_b32_e32 v4, 4, v0                                // 000000002C84: 24080084
	v_add_u32_e32 v4, s60, v4                                  // 000000002C88: 6808083C
	buffer_load_dword v3, v4, s[12:15], 0 offen                // 000000002C8C: E0501000 80030304
	v_mov_b32_e32 v56, 0                                       // 000000002C94: 7E700280
	v_mov_b32_e32 v88, 0                                       // 000000002C98: 7EB00280
	v_mov_b32_e32 v57, 0                                       // 000000002C9C: 7E720280
	v_mov_b32_e32 v89, 0                                       // 000000002CA0: 7EB20280
	v_mov_b32_e32 v58, 0                                       // 000000002CA4: 7E740280
	v_mov_b32_e32 v90, 0                                       // 000000002CA8: 7EB40280
	v_mov_b32_e32 v59, 0                                       // 000000002CAC: 7E760280
	v_mov_b32_e32 v91, 0                                       // 000000002CB0: 7EB60280
	v_mov_b32_e32 v60, 0                                       // 000000002CB4: 7E780280
	v_mov_b32_e32 v92, 0                                       // 000000002CB8: 7EB80280
	v_mov_b32_e32 v61, 0                                       // 000000002CBC: 7E7A0280
	v_mov_b32_e32 v93, 0                                       // 000000002CC0: 7EBA0280
	v_mov_b32_e32 v62, 0                                       // 000000002CC4: 7E7C0280
	v_mov_b32_e32 v94, 0                                       // 000000002CC8: 7EBC0280
	v_mov_b32_e32 v63, 0                                       // 000000002CCC: 7E7E0280
	v_mov_b32_e32 v95, 0                                       // 000000002CD0: 7EBE0280
	v_mov_b32_e32 v64, 0                                       // 000000002CD4: 7E800280
	v_mov_b32_e32 v96, 0                                       // 000000002CD8: 7EC00280
	v_mov_b32_e32 v65, 0                                       // 000000002CDC: 7E820280
	v_mov_b32_e32 v97, 0                                       // 000000002CE0: 7EC20280
	v_mov_b32_e32 v66, 0                                       // 000000002CE4: 7E840280
	v_mov_b32_e32 v98, 0                                       // 000000002CE8: 7EC40280
	v_mov_b32_e32 v67, 0                                       // 000000002CEC: 7E860280
	v_mov_b32_e32 v99, 0                                       // 000000002CF0: 7EC60280
	v_mov_b32_e32 v68, 0                                       // 000000002CF4: 7E880280
	v_mov_b32_e32 v100, 0                                      // 000000002CF8: 7EC80280
	v_mov_b32_e32 v69, 0                                       // 000000002CFC: 7E8A0280
	v_mov_b32_e32 v101, 0                                      // 000000002D00: 7ECA0280
	v_mov_b32_e32 v70, 0                                       // 000000002D04: 7E8C0280
	v_mov_b32_e32 v102, 0                                      // 000000002D08: 7ECC0280
	v_mov_b32_e32 v71, 0                                       // 000000002D0C: 7E8E0280
	v_mov_b32_e32 v103, 0                                      // 000000002D10: 7ECE0280
	v_mov_b32_e32 v72, 0                                       // 000000002D14: 7E900280
	v_mov_b32_e32 v104, 0                                      // 000000002D18: 7ED00280
	v_mov_b32_e32 v73, 0                                       // 000000002D1C: 7E920280
	v_mov_b32_e32 v105, 0                                      // 000000002D20: 7ED20280
	v_mov_b32_e32 v74, 0                                       // 000000002D24: 7E940280
	v_mov_b32_e32 v106, 0                                      // 000000002D28: 7ED40280
	v_mov_b32_e32 v75, 0                                       // 000000002D2C: 7E960280
	v_mov_b32_e32 v107, 0                                      // 000000002D30: 7ED60280
	v_mov_b32_e32 v76, 0                                       // 000000002D34: 7E980280
	v_mov_b32_e32 v108, 0                                      // 000000002D38: 7ED80280
	v_mov_b32_e32 v77, 0                                       // 000000002D3C: 7E9A0280
	v_mov_b32_e32 v109, 0                                      // 000000002D40: 7EDA0280
	v_mov_b32_e32 v78, 0                                       // 000000002D44: 7E9C0280
	v_mov_b32_e32 v110, 0                                      // 000000002D48: 7EDC0280
	v_mov_b32_e32 v79, 0                                       // 000000002D4C: 7E9E0280
	v_mov_b32_e32 v111, 0                                      // 000000002D50: 7EDE0280
	v_mov_b32_e32 v80, 0                                       // 000000002D54: 7EA00280
	v_mov_b32_e32 v112, 0                                      // 000000002D58: 7EE00280
	v_mov_b32_e32 v81, 0                                       // 000000002D5C: 7EA20280
	v_mov_b32_e32 v113, 0                                      // 000000002D60: 7EE20280
	v_mov_b32_e32 v82, 0                                       // 000000002D64: 7EA40280
	v_mov_b32_e32 v114, 0                                      // 000000002D68: 7EE40280
	v_mov_b32_e32 v83, 0                                       // 000000002D6C: 7EA60280
	v_mov_b32_e32 v115, 0                                      // 000000002D70: 7EE60280
	v_mov_b32_e32 v84, 0                                       // 000000002D74: 7EA80280
	v_mov_b32_e32 v116, 0                                      // 000000002D78: 7EE80280
	v_mov_b32_e32 v85, 0                                       // 000000002D7C: 7EAA0280
	v_mov_b32_e32 v117, 0                                      // 000000002D80: 7EEA0280
	v_mov_b32_e32 v86, 0                                       // 000000002D84: 7EAC0280
	v_mov_b32_e32 v118, 0                                      // 000000002D88: 7EEC0280
	v_mov_b32_e32 v87, 0                                       // 000000002D8C: 7EAE0280
	v_mov_b32_e32 v119, 0                                      // 000000002D90: 7EEE0280
	s_mul_i32 s60, s2, 0x100                                   // 000000002D94: 923CFF02 00000100
	s_cmp_eq_u32 s88, 0                                        // 000000002D9C: BF068058
	s_cselect_b32 s61, 1, 2                                    // 000000002DA0: 853D8281
	s_mul_i32 s60, s60, s61                                    // 000000002DA4: 923C3D3C
	s_mov_b32 s90, s8                                          // 000000002DA8: BEDA0008
	s_mov_b32 s91, s9                                          // 000000002DAC: BEDB0009
	s_add_u32 s8, s60, s8                                      // 000000002DB0: 8008083C
	s_addc_u32 s9, 0, s9                                       // 000000002DB4: 82090980
	v_lshrrev_b32_e32 v4, 4, v0                                // 000000002DB8: 20080084
	v_mul_lo_u32 v20, 34, v4                                   // 000000002DBC: D2850014 000208A2
	v_and_b32_e32 v4, 15, v0                                   // 000000002DC4: 2608008F
	v_mul_lo_u32 v5, 2, v4                                     // 000000002DC8: D2850005 00020882
	v_add_u32_e32 v20, v5, v20                                 // 000000002DD0: 68282905
	s_mul_i32 s60, s7, 0x88                                    // 000000002DD4: 923CFF07 00000088
	v_add_u32_e32 v20, s60, v20                                // 000000002DDC: 6828283C
	v_lshlrev_b32_e32 v20, 2, v20                              // 000000002DE0: 24282882
	v_and_b32_e32 v4, 31, v0                                   // 000000002DE4: 2608009F
	v_lshrrev_b32_e32 v4, 1, v4                                // 000000002DE8: 20080881
	v_mul_lo_u32 v21, 34, v4                                   // 000000002DEC: D2850015 000208A2
	v_lshrrev_b32_e32 v4, 5, v0                                // 000000002DF4: 20080085
	v_mul_lo_u32 v4, 8, v4                                     // 000000002DF8: D2850004 00020888
	v_add_u32_e32 v21, v21, v4                                 // 000000002E00: 682A0915
	v_and_b32_e32 v5, 1, v0                                    // 000000002E04: 260A0081
	v_add_u32_e32 v21, v5, v21                                 // 000000002E08: 682A2B05
	s_mul_i32 s60, s7, 2                                       // 000000002E0C: 923C8207
	v_add_u32_e32 v21, s60, v21                                // 000000002E10: 682A2A3C
	v_lshlrev_b32_e32 v21, 2, v21                              // 000000002E14: 242A2A82
	s_mul_i32 s60, s7, 0x820                                   // 000000002E18: 923CFF07 00000820
	s_add_u32 s48, 0, s60                                      // 000000002E20: 80303C80
	s_add_u32 s49, 0x2080, s48                                 // 000000002E24: 803130FF 00002080
	v_lshrrev_b32_e32 v4, 4, v0                                // 000000002E2C: 20080084
	v_lshlrev_b32_e32 v5, 2, v4                                // 000000002E30: 240A0882
	v_and_b32_e32 v4, 15, v0                                   // 000000002E34: 2608008F
	v_lshrrev_b32_e32 v6, 2, v4                                // 000000002E38: 200C0882
	v_lshlrev_b32_e32 v6, 5, v6                                // 000000002E3C: 240C0C85
	v_add_u32_e32 v5, v6, v5                                   // 000000002E40: 680A0B06
	v_and_b32_e32 v4, 3, v0                                    // 000000002E44: 26080083
	v_mul_u32_u24_e32 v6, 0x208, v4                            // 000000002E48: 100C08FF 00000208
	v_add_u32_e32 v5, v6, v5                                   // 000000002E50: 680A0B06
	v_lshlrev_b32_e32 v2, 2, v5                                // 000000002E54: 24040A82
	s_waitcnt lgkmcnt(0)                                       // 000000002E58: BF8CC07F
	s_mul_i32 s60, s2, 0x80                                    // 000000002E5C: 923CFF02 00000080
	s_mul_i32 s60, s60, s69                                    // 000000002E64: 923C453C
	s_mul_i32 s61, s5, s72                                     // 000000002E68: 923D4805
	s_add_u32 s60, s61, s60                                    // 000000002E6C: 803C3C3D
	s_add_u32 s24, s60, s24                                    // 000000002E70: 8018183C
	s_addc_u32 s25, 0, s25                                     // 000000002E74: 82191980
	s_lshr_b32 s60, s64, s88                                   // 000000002E78: 8F3C5840
	s_mul_i32 s60, s4, s60                                     // 000000002E7C: 923C3C04
	s_lshr_b32 s60, s60, 7                                     // 000000002E80: 8F3C873C
	s_mul_i32 s60, s60, 0x800                                  // 000000002E84: 923CFF3C 00000800
	s_add_u32 s24, s60, s24                                    // 000000002E8C: 8018183C
	s_addc_u32 s25, 0, s25                                     // 000000002E90: 82191980
	s_lshr_b32 s60, s69, s88                                   // 000000002E94: 8F3C5845
	s_mul_i32 s60, s4, s60                                     // 000000002E98: 923C3C04
	s_add_u32 s20, s60, s20                                    // 000000002E9C: 8014143C
	s_addc_u32 s21, 0, s21                                     // 000000002EA0: 82151580
	s_mul_i32 s60, s7, 16                                      // 000000002EA4: 923C9007
	s_mul_i32 s60, s60, s69                                    // 000000002EA8: 923C453C
	v_lshlrev_b32_e32 v52, 4, v0                               // 000000002EAC: 24680084
	v_add_u32_e32 v52, s60, v52                                // 000000002EB0: 6868683C
	s_mul_i32 s60, 64, s69                                     // 000000002EB4: 923C45C0
	v_add_u32_e32 v53, s60, v52                                // 000000002EB8: 686A683C
	s_mov_b32 s84, s24                                         // 000000002EBC: BED40018
	s_mov_b32 s85, s25                                         // 000000002EC0: BED50019
	s_mov_b32 s86, s26                                         // 000000002EC4: BED6001A
	s_mov_b32 s87, s27                                         // 000000002EC8: BED7001B
	s_mul_i32 s60, s69, s65                                    // 000000002ECC: 923C4145
	s_add_u32 s84, s60, s84                                    // 000000002ED0: 8054543C
	s_addc_u32 s85, 0, s85                                     // 000000002ED4: 82555580
	v_lshrrev_b32_e32 v4, 4, v0                                // 000000002ED8: 20080084
	v_lshlrev_b32_e32 v5, 2, v4                                // 000000002EDC: 240A0882
	v_and_b32_e32 v4, 15, v0                                   // 000000002EE0: 2608008F
	v_lshrrev_b32_e32 v6, 2, v4                                // 000000002EE4: 200C0882
	v_lshlrev_b32_e32 v6, 6, v6                                // 000000002EE8: 240C0C86
	v_add_u32_e32 v5, v6, v5                                   // 000000002EEC: 680A0B06
	v_and_b32_e32 v4, 3, v0                                    // 000000002EF0: 26080083
	v_add_u32_e32 v5, v4, v5                                   // 000000002EF4: 680A0B04
	v_lshlrev_b32_e32 v22, 2, v5                               // 000000002EF8: 242C0A82
	s_mul_i32 s60, s7, 16                                      // 000000002EFC: 923C9007
	s_mul_i32 s60, s60, 4                                      // 000000002F00: 923C843C
	v_add_u32_e32 v22, s60, v22                                // 000000002F04: 682C2C3C
	s_mul_i32 s60, s2, 0x80                                    // 000000002F08: 923CFF02 00000080
	s_mul_i32 s60, s60, 4                                      // 000000002F10: 923C843C
	s_mul_i32 s61, s5, s74                                     // 000000002F14: 923D4A05
	s_add_u32 s61, s61, s60                                    // 000000002F18: 803D3C3D
	s_add_u32 s32, s61, s32                                    // 000000002F1C: 8020203D
	s_addc_u32 s33, 0, s33                                     // 000000002F20: 82212180
	s_mov_b32 s57, 0x80                                        // 000000002F24: BEB900FF 00000080
	s_mov_b32 s58, 0x800                                       // 000000002F2C: BEBA00FF 00000800
	s_mov_b32 s83, s58                                         // 000000002F34: BED3003A
	s_mov_b32 s52, 0x7060302                                   // 000000002F38: BEB400FF 07060302
	s_mov_b32 s53, 0x400                                       // 000000002F40: BEB500FF 00000400
	s_mov_b32 s54, 0x40100                                     // 000000002F48: BEB600FF 00040100
	s_mov_b32 s55, 0x4020100                                   // 000000002F50: BEB700FF 04020100
	s_mov_b32 s6, 0x3fb8aa3b                                   // 000000002F58: BE8600FF 3FB8AA3B
	s_mov_b32 s78, 0xbd92220c                                  // 000000002F60: BECE00FF BD92220C
	s_mov_b32 s79, 0xbd92220c                                  // 000000002F68: BECF00FF BD92220C
	s_mov_b32 m0, s48                                          // 000000002F70: BEFC0030
	v_mov_b32_e32 v1, 0xbfcc4231                               // 000000002F74: 7E0202FF BFCC4231
	v_mov_b32_e32 v17, 0xffff0000                              // 000000002F7C: 7E2202FF FFFF0000
	v_mov_b32_e32 v18, 0x7fff0000                              // 000000002F84: 7E2402FF 7FFF0000
	v_mov_b32_e32 v19, 0x7fff                                  // 000000002F8C: 7E2602FF 00007FFF
	s_waitcnt vmcnt(0) expcnt(0) lgkmcnt(0)                    // 000000002F94: BF8C0000
	s_mul_i32 s60, s3, 64                                      // 000000002F98: 923CC003
	s_mul_i32 s60, 4, s60                                      // 000000002F9C: 923C3C84
	s_add_u32 s40, s60, s40                                    // 000000002FA0: 8028283C
	s_addc_u32 s41, 0, s41                                     // 000000002FA4: 82292980
	v_and_b32_e32 v4, 15, v0                                   // 000000002FA8: 2608008F
	v_lshlrev_b32_e32 v4, 2, v4                                // 000000002FAC: 24080882
	buffer_load_dword v120, v4, s[40:43], 0 offen              // 000000002FB0: E0501000 800A7804
	buffer_load_dword v121, v4, s[40:43], 0 offen offset:64    // 000000002FB8: E0501040 800A7904
	buffer_load_dword v122, v4, s[40:43], 0 offen offset:128   // 000000002FC0: E0501080 800A7A04
	buffer_load_dword v123, v4, s[40:43], 0 offen offset:192   // 000000002FC8: E05010C0 800A7B04
	v_lshrrev_b32_e32 v4, 5, v0                                // 000000002FD0: 20080085
	v_xor_b32_e32 v5, 1, v4                                    // 000000002FD4: 2A0A0881
	v_readlane_b32 s82, v3, 0                                  // 000000002FD8: D2890052 00010103
	s_and_b32 s82, s82, 0xffffff                               // 000000002FE0: 8652FF52 00FFFFFF
	v_mul_lo_u32 v6, v5, s82                                   // 000000002FE8: D2850006 0000A505
	v_readlane_b32 s82, v3, 1                                  // 000000002FF0: D2890052 00010303
	s_and_b32 s82, s82, 0xffffff                               // 000000002FF8: 8652FF52 00FFFFFF
	v_mul_lo_u32 v7, v4, s82                                   // 000000003000: D2850007 0000A504
	v_add_u32_e32 v44, v6, v7                                  // 000000003008: 68580F06
	v_mul_lo_u32 v44, v44, s68                                 // 00000000300C: D285002C 0000892C
	v_readlane_b32 s82, v3, 2                                  // 000000003014: D2890052 00010503
	s_and_b32 s82, s82, 0xffffff                               // 00000000301C: 8652FF52 00FFFFFF
	v_mul_lo_u32 v6, v5, s82                                   // 000000003024: D2850006 0000A505
	v_readlane_b32 s82, v3, 3                                  // 00000000302C: D2890052 00010703
	s_and_b32 s82, s82, 0xffffff                               // 000000003034: 8652FF52 00FFFFFF
	v_mul_lo_u32 v7, v4, s82                                   // 00000000303C: D2850007 0000A504
	v_add_u32_e32 v45, v6, v7                                  // 000000003044: 685A0F06
	v_mul_lo_u32 v45, v45, s68                                 // 000000003048: D285002D 0000892D
	v_readlane_b32 s82, v3, 4                                  // 000000003050: D2890052 00010903
	s_and_b32 s82, s82, 0xffffff                               // 000000003058: 8652FF52 00FFFFFF
	v_mul_lo_u32 v6, v5, s82                                   // 000000003060: D2850006 0000A505
	v_readlane_b32 s82, v3, 5                                  // 000000003068: D2890052 00010B03
	s_and_b32 s82, s82, 0xffffff                               // 000000003070: 8652FF52 00FFFFFF
	v_mul_lo_u32 v7, v4, s82                                   // 000000003078: D2850007 0000A504
	v_add_u32_e32 v46, v6, v7                                  // 000000003080: 685C0F06
	v_mul_lo_u32 v46, v46, s68                                 // 000000003084: D285002E 0000892E
	v_readlane_b32 s82, v3, 6                                  // 00000000308C: D2890052 00010D03
	s_and_b32 s82, s82, 0xffffff                               // 000000003094: 8652FF52 00FFFFFF
	v_mul_lo_u32 v6, v5, s82                                   // 00000000309C: D2850006 0000A505
	v_readlane_b32 s82, v3, 7                                  // 0000000030A4: D2890052 00010F03
	s_and_b32 s82, s82, 0xffffff                               // 0000000030AC: 8652FF52 00FFFFFF
	v_mul_lo_u32 v7, v4, s82                                   // 0000000030B4: D2850007 0000A504
	v_add_u32_e32 v47, v6, v7                                  // 0000000030BC: 685E0F06
	v_mul_lo_u32 v47, v47, s68                                 // 0000000030C0: D285002F 0000892F
	v_readlane_b32 s82, v3, 8                                  // 0000000030C8: D2890052 00011103
	s_and_b32 s82, s82, 0xffffff                               // 0000000030D0: 8652FF52 00FFFFFF
	v_mul_lo_u32 v6, v5, s82                                   // 0000000030D8: D2850006 0000A505
	v_readlane_b32 s82, v3, 9                                  // 0000000030E0: D2890052 00011303
	s_and_b32 s82, s82, 0xffffff                               // 0000000030E8: 8652FF52 00FFFFFF
	v_mul_lo_u32 v7, v4, s82                                   // 0000000030F0: D2850007 0000A504
	v_add_u32_e32 v48, v6, v7                                  // 0000000030F8: 68600F06
	v_mul_lo_u32 v48, v48, s68                                 // 0000000030FC: D2850030 00008930
	v_readlane_b32 s82, v3, 10                                 // 000000003104: D2890052 00011503
	s_and_b32 s82, s82, 0xffffff                               // 00000000310C: 8652FF52 00FFFFFF
	v_mul_lo_u32 v6, v5, s82                                   // 000000003114: D2850006 0000A505
	v_readlane_b32 s82, v3, 11                                 // 00000000311C: D2890052 00011703
	s_and_b32 s82, s82, 0xffffff                               // 000000003124: 8652FF52 00FFFFFF
	v_mul_lo_u32 v7, v4, s82                                   // 00000000312C: D2850007 0000A504
	v_add_u32_e32 v49, v6, v7                                  // 000000003134: 68620F06
	v_mul_lo_u32 v49, v49, s68                                 // 000000003138: D2850031 00008931
	v_readlane_b32 s82, v3, 12                                 // 000000003140: D2890052 00011903
	s_and_b32 s82, s82, 0xffffff                               // 000000003148: 8652FF52 00FFFFFF
	v_mul_lo_u32 v6, v5, s82                                   // 000000003150: D2850006 0000A505
	v_readlane_b32 s82, v3, 13                                 // 000000003158: D2890052 00011B03
	s_and_b32 s82, s82, 0xffffff                               // 000000003160: 8652FF52 00FFFFFF
	v_mul_lo_u32 v7, v4, s82                                   // 000000003168: D2850007 0000A504
	v_add_u32_e32 v50, v6, v7                                  // 000000003170: 68640F06
	v_mul_lo_u32 v50, v50, s68                                 // 000000003174: D2850032 00008932
	v_readlane_b32 s82, v3, 14                                 // 00000000317C: D2890052 00011D03
	s_and_b32 s82, s82, 0xffffff                               // 000000003184: 8652FF52 00FFFFFF
	v_mul_lo_u32 v6, v5, s82                                   // 00000000318C: D2850006 0000A505
	v_readlane_b32 s82, v3, 15                                 // 000000003194: D2890052 00011F03
	s_and_b32 s82, s82, 0xffffff                               // 00000000319C: 8652FF52 00FFFFFF
	v_mul_lo_u32 v7, v4, s82                                   // 0000000031A4: D2850007 0000A504
	v_add_u32_e32 v51, v6, v7                                  // 0000000031AC: 68660F06
	v_mul_lo_u32 v51, v51, s68                                 // 0000000031B0: D2850033 00008933
	v_and_b32_e32 v4, 31, v0                                   // 0000000031B8: 2608009F
	v_lshlrev_b32_e32 v4, 2, v4                                // 0000000031BC: 24080882
	v_add_u32_e32 v44, v44, v4                                 // 0000000031C0: 6858092C
	v_add_u32_e32 v45, v45, v4                                 // 0000000031C4: 685A092D
	v_add_u32_e32 v46, v46, v4                                 // 0000000031C8: 685C092E
	v_add_u32_e32 v47, v47, v4                                 // 0000000031CC: 685E092F
	v_add_u32_e32 v48, v48, v4                                 // 0000000031D0: 68600930
	v_add_u32_e32 v49, v49, v4                                 // 0000000031D4: 68620931
	v_add_u32_e32 v50, v50, v4                                 // 0000000031D8: 68640932
	v_add_u32_e32 v51, v51, v4                                 // 0000000031DC: 68660933
	v_and_b32_e32 v28, 0xffffff, v28                           // 0000000031E0: 263838FF 00FFFFFF
	v_lshlrev_b32_e32 v28, 2, v28                              // 0000000031E8: 24383882
	v_and_b32_e32 v29, 0xffffff, v29                           // 0000000031EC: 263A3AFF 00FFFFFF
	v_lshlrev_b32_e32 v29, 2, v29                              // 0000000031F4: 243A3A82
	v_and_b32_e32 v30, 0xffffff, v30                           // 0000000031F8: 263C3CFF 00FFFFFF
	v_lshlrev_b32_e32 v30, 2, v30                              // 000000003200: 243C3C82
	v_and_b32_e32 v31, 0xffffff, v31                           // 000000003204: 263E3EFF 00FFFFFF
	v_lshlrev_b32_e32 v31, 2, v31                              // 00000000320C: 243E3E82
	s_lshl_b32 s3, s66, 2                                      // 000000003210: 8E038242
	buffer_load_dword v32, v28, s[28:31], 0 offen              // 000000003214: E0501000 8007201C
	buffer_load_dword v33, v29, s[28:31], 0 offen              // 00000000321C: E0501000 8007211D
	buffer_load_dword v34, v30, s[28:31], 0 offen              // 000000003224: E0501000 8007221E
	buffer_load_dword v35, v31, s[28:31], 0 offen              // 00000000322C: E0501000 8007231F
	buffer_load_dword v24, v22, s[32:35], 0 offen              // 000000003234: E0501000 80081816
	s_mul_i32 s60, 4, s65                                      // 00000000323C: 923C4184
	s_add_u32 s32, s60, s32                                    // 000000003240: 8020203C
	s_addc_u32 s33, 0, s33                                     // 000000003244: 82212180
	buffer_load_dword v26, v22, s[32:35], 0 offen              // 000000003248: E0501000 80081A16
	buffer_load_dword v44, s[20:23], 0 offen lds               // 000000003250: E0511000 8005002C
	s_add_u32 m0, 0x100, s48                                   // 000000003258: 807C30FF 00000100
	buffer_load_dword v45, s[20:23], 0 offen lds               // 000000003260: E0511000 8005002D
	s_add_u32 m0, 0x200, s48                                   // 000000003268: 807C30FF 00000200
	buffer_load_dword v46, s[20:23], 0 offen lds               // 000000003270: E0511000 8005002E
	s_add_u32 m0, 0x300, s48                                   // 000000003278: 807C30FF 00000300
	buffer_load_dword v47, s[20:23], 0 offen lds               // 000000003280: E0511000 8005002F
	s_add_u32 m0, 0x400, s48                                   // 000000003288: 807C30FF 00000400
	buffer_load_dword v48, s[20:23], 0 offen lds               // 000000003290: E0511000 80050030
	s_add_u32 m0, 0x500, s48                                   // 000000003298: 807C30FF 00000500
	buffer_load_dword v49, s[20:23], 0 offen lds               // 0000000032A0: E0511000 80050031
	s_add_u32 m0, 0x600, s48                                   // 0000000032A8: 807C30FF 00000600
	buffer_load_dword v50, s[20:23], 0 offen lds               // 0000000032B0: E0511000 80050032
	s_add_u32 m0, 0x700, s48                                   // 0000000032B8: 807C30FF 00000700
	buffer_load_dword v51, s[20:23], 0 offen lds               // 0000000032C0: E0511000 80050033
	s_add_u32 m0, 0, s49                                       // 0000000032C8: 807C3180
	s_add_u32 s20, s57, s20                                    // 0000000032CC: 80141439
	s_addc_u32 s21, 0, s21                                     // 0000000032D0: 82151580
	buffer_load_dword v44, s[20:23], 0 offen lds               // 0000000032D4: E0511000 8005002C
	s_add_u32 m0, 0x100, s49                                   // 0000000032DC: 807C31FF 00000100
	buffer_load_dword v45, s[20:23], 0 offen lds               // 0000000032E4: E0511000 8005002D
	s_add_u32 m0, 0x200, s49                                   // 0000000032EC: 807C31FF 00000200
	buffer_load_dword v46, s[20:23], 0 offen lds               // 0000000032F4: E0511000 8005002E
	s_add_u32 m0, 0x300, s49                                   // 0000000032FC: 807C31FF 00000300
	buffer_load_dword v47, s[20:23], 0 offen lds               // 000000003304: E0511000 8005002F
	s_add_u32 m0, 0x400, s49                                   // 00000000330C: 807C31FF 00000400
	buffer_load_dword v48, s[20:23], 0 offen lds               // 000000003314: E0511000 80050030
	s_add_u32 m0, 0x500, s49                                   // 00000000331C: 807C31FF 00000500
	buffer_load_dword v49, s[20:23], 0 offen lds               // 000000003324: E0511000 80050031
	s_add_u32 m0, 0x600, s49                                   // 00000000332C: 807C31FF 00000600
	buffer_load_dword v50, s[20:23], 0 offen lds               // 000000003334: E0511000 80050032
	s_add_u32 m0, 0x700, s49                                   // 00000000333C: 807C31FF 00000700
	buffer_load_dword v51, s[20:23], 0 offen lds               // 000000003344: E0511000 80050033
	s_add_u32 m0, 0, s48                                       // 00000000334C: 807C3080
	s_add_u32 s20, s57, s20                                    // 000000003350: 80141439
	s_addc_u32 s21, 0, s21                                     // 000000003354: 82151580
	buffer_load_dwordx4 a[64:67], v52, s[24:27], 0 offen       // 000000003358: E05C1000 80864034
	buffer_load_dwordx4 a[68:71], v52, s[24:27], 0 offen offset:1024// 000000003360: E05C1400 80864434
	buffer_load_dwordx4 a[72:75], v53, s[24:27], 0 offen       // 000000003368: E05C1000 80864835
	buffer_load_dwordx4 a[76:79], v53, s[24:27], 0 offen offset:1024// 000000003370: E05C1400 80864C35
	s_add_u32 s24, s58, s24                                    // 000000003378: 8018183A
	s_addc_u32 s25, 0, s25                                     // 00000000337C: 82191980
	s_waitcnt vmcnt(12)                                        // 000000003380: BF8C0F7C
	s_barrier                                                  // 000000003384: BF8A0000
	ds_read_b128 a[0:3], v2                                    // 000000003388: DBFE0000 00000002
	ds_read_b128 a[4:7], v2 offset:64                          // 000000003390: DBFE0040 04000002
	ds_read_b128 a[8:11], v2 offset:512                        // 000000003398: DBFE0200 08000002
	ds_read_b128 a[12:15], v2 offset:576                       // 0000000033A0: DBFE0240 0C000002
	ds_read_b128 a[16:19], v2 offset:1024                      // 0000000033A8: DBFE0400 10000002
	ds_read_b128 a[20:23], v2 offset:1088                      // 0000000033B0: DBFE0440 14000002
	ds_read_b128 a[24:27], v2 offset:1536                      // 0000000033B8: DBFE0600 18000002
	ds_read_b128 a[28:31], v2 offset:1600                      // 0000000033C0: DBFE0640 1C000002
	s_cmp_lt_i32 s7, 2                                         // 0000000033C8: BF048207
	s_cbranch_scc0 label_0DD1                                  // 0000000033CC: BF840B5A

00000000000033d0 <label_0274>:
	s_waitcnt vmcnt(2) lgkmcnt(0)                              // 0000000033D0: BF8C0072
	s_barrier                                                  // 0000000033D4: BF8A0000
	v_mfma_f32_16x16x32_fp8_fp8 v[56:59], a[64:65], a[0:1], v[56:59]// 0000000033D8: D3F30038 1CE20140
	v_mfma_f32_16x16x32_fp8_fp8 v[56:59], a[66:67], a[2:3], v[56:59]// 0000000033E0: D3F30038 1CE20542
	buffer_load_dwordx4 a[80:83], v52, s[84:87], 0 offen       // 0000000033E8: E05C1000 80955034
	v_mfma_f32_16x16x32_fp8_fp8 v[56:59], a[68:69], a[4:5], v[56:59]// 0000000033F0: D3F30038 1CE20944
	v_mfma_f32_16x16x32_fp8_fp8 v[56:59], a[70:71], a[6:7], v[56:59]// 0000000033F8: D3F30038 1CE20D46
	v_mfma_f32_16x16x32_fp8_fp8 v[60:63], a[64:65], a[8:9], v[60:63]// 000000003400: D3F3003C 1CF21140
	v_mfma_f32_16x16x32_fp8_fp8 v[60:63], a[66:67], a[10:11], v[60:63]// 000000003408: D3F3003C 1CF21542
	buffer_load_dwordx4 a[84:87], v52, s[84:87], 0 offen offset:1024// 000000003410: E05C1400 80955434
	v_mfma_f32_16x16x32_fp8_fp8 v[60:63], a[68:69], a[12:13], v[60:63]// 000000003418: D3F3003C 1CF21944
	v_mfma_f32_16x16x32_fp8_fp8 v[60:63], a[70:71], a[14:15], v[60:63]// 000000003420: D3F3003C 1CF21D46
	v_mfma_f32_16x16x32_fp8_fp8 v[64:67], a[64:65], a[16:17], v[64:67]// 000000003428: D3F30040 1D022140
	v_mfma_f32_16x16x32_fp8_fp8 v[64:67], a[66:67], a[18:19], v[64:67]// 000000003430: D3F30040 1D022542
	buffer_load_dwordx4 a[88:91], v53, s[84:87], 0 offen       // 000000003438: E05C1000 80955835
	v_mfma_f32_16x16x32_fp8_fp8 v[64:67], a[68:69], a[20:21], v[64:67]// 000000003440: D3F30040 1D022944
	v_mfma_f32_16x16x32_fp8_fp8 v[64:67], a[70:71], a[22:23], v[64:67]// 000000003448: D3F30040 1D022D46
	v_mfma_f32_16x16x32_fp8_fp8 v[68:71], a[64:65], a[24:25], v[68:71]// 000000003450: D3F30044 1D123140
	v_mfma_f32_16x16x32_fp8_fp8 v[68:71], a[66:67], a[26:27], v[68:71]// 000000003458: D3F30044 1D123542
	buffer_load_dwordx4 a[92:95], v53, s[84:87], 0 offen offset:1024// 000000003460: E05C1400 80955C35
	buffer_load_dword v44, s[20:23], 0 offen lds               // 000000003468: E0511000 8005002C
	s_add_u32 m0, 0x100, s48                                   // 000000003470: 807C30FF 00000100
	v_mfma_f32_16x16x32_fp8_fp8 v[68:71], a[68:69], a[28:29], v[68:71]// 000000003478: D3F30044 1D123944
	v_mfma_f32_16x16x32_fp8_fp8 v[68:71], a[70:71], a[30:31], v[68:71]// 000000003480: D3F30044 1D123D46
	buffer_load_dword v45, s[20:23], 0 offen lds               // 000000003488: E0511000 8005002D
	s_add_u32 m0, 0x200, s48                                   // 000000003490: 807C30FF 00000200
	s_waitcnt vmcnt(6)                                         // 000000003498: BF8C0F76
	v_mfma_f32_16x16x32_fp8_fp8 v[72:75], a[72:73], a[0:1], v[72:75]// 00000000349C: D3F30048 1D220148
	v_mfma_f32_16x16x32_fp8_fp8 v[72:75], a[74:75], a[2:3], v[72:75]// 0000000034A4: D3F30048 1D22054A
	buffer_load_dword v46, s[20:23], 0 offen lds               // 0000000034AC: E0511000 8005002E
	s_add_u32 m0, 0x300, s48                                   // 0000000034B4: 807C30FF 00000300
	v_mfma_f32_16x16x32_fp8_fp8 v[72:75], a[76:77], a[4:5], v[72:75]// 0000000034BC: D3F30048 1D22094C
	v_mfma_f32_16x16x32_fp8_fp8 v[72:75], a[78:79], a[6:7], v[72:75]// 0000000034C4: D3F30048 1D220D4E
	buffer_load_dword v47, s[20:23], 0 offen lds               // 0000000034CC: E0511000 8005002F
	s_add_u32 m0, 0x400, s48                                   // 0000000034D4: 807C30FF 00000400
	v_mfma_f32_16x16x32_fp8_fp8 v[76:79], a[72:73], a[8:9], v[76:79]// 0000000034DC: D3F3004C 1D321148
	v_mfma_f32_16x16x32_fp8_fp8 v[76:79], a[74:75], a[10:11], v[76:79]// 0000000034E4: D3F3004C 1D32154A
	buffer_load_dword v48, s[20:23], 0 offen lds               // 0000000034EC: E0511000 80050030
	s_add_u32 m0, 0x500, s48                                   // 0000000034F4: 807C30FF 00000500
	v_mfma_f32_16x16x32_fp8_fp8 v[76:79], a[76:77], a[12:13], v[76:79]// 0000000034FC: D3F3004C 1D32194C
	v_mfma_f32_16x16x32_fp8_fp8 v[76:79], a[78:79], a[14:15], v[76:79]// 000000003504: D3F3004C 1D321D4E
	buffer_load_dword v49, s[20:23], 0 offen lds               // 00000000350C: E0511000 80050031
	s_add_u32 m0, 0x600, s48                                   // 000000003514: 807C30FF 00000600
	v_mfma_f32_16x16x32_fp8_fp8 v[80:83], a[72:73], a[16:17], v[80:83]// 00000000351C: D3F30050 1D422148
	v_mfma_f32_16x16x32_fp8_fp8 v[80:83], a[74:75], a[18:19], v[80:83]// 000000003524: D3F30050 1D42254A
	buffer_load_dword v50, s[20:23], 0 offen lds               // 00000000352C: E0511000 80050032
	s_add_u32 m0, 0x700, s48                                   // 000000003534: 807C30FF 00000700
	v_mfma_f32_16x16x32_fp8_fp8 v[80:83], a[76:77], a[20:21], v[80:83]// 00000000353C: D3F30050 1D42294C
	v_mfma_f32_16x16x32_fp8_fp8 v[80:83], a[78:79], a[22:23], v[80:83]// 000000003544: D3F30050 1D422D4E
	buffer_load_dword v51, s[20:23], 0 offen lds               // 00000000354C: E0511000 80050033
	s_add_u32 m0, 0, s49                                       // 000000003554: 807C3180
	v_mfma_f32_16x16x32_fp8_fp8 v[84:87], a[72:73], a[24:25], v[84:87]// 000000003558: D3F30054 1D523148
	v_mfma_f32_16x16x32_fp8_fp8 v[84:87], a[74:75], a[26:27], v[84:87]// 000000003560: D3F30054 1D52354A
	s_add_u32 s60, 0x80, s80                                   // 000000003568: 803C50FF 00000080
	s_cmp_lt_u32 s60, s81                                      // 000000003570: BF0A513C
	s_cselect_b32 s83, s83, 0                                  // 000000003574: 85538053
	v_mfma_f32_16x16x32_fp8_fp8 v[84:87], a[76:77], a[28:29], v[84:87]// 000000003578: D3F30054 1D52394C
	v_mfma_f32_16x16x32_fp8_fp8 v[84:87], a[78:79], a[30:31], v[84:87]// 000000003580: D3F30054 1D523D4E
	s_waitcnt vmcnt(8)                                         // 000000003588: BF8C0F78
	v_mfma_f32_16x16x32_fp8_fp8 v[88:91], a[80:81], a[0:1], v[88:91]// 00000000358C: D3F30058 1D620150
	v_mfma_f32_16x16x32_fp8_fp8 v[88:91], a[82:83], a[2:3], v[88:91]// 000000003594: D3F30058 1D620552
	buffer_load_dwordx4 a[64:67], v52, s[24:27], 0 offen       // 00000000359C: E05C1000 80864034
	v_mfma_f32_16x16x32_fp8_fp8 v[88:91], a[84:85], a[4:5], v[88:91]// 0000000035A4: D3F30058 1D620954
	v_mfma_f32_16x16x32_fp8_fp8 v[88:91], a[86:87], a[6:7], v[88:91]// 0000000035AC: D3F30058 1D620D56
	ds_read_b128 a[32:35], v2 offset:8320                      // 0000000035B4: DBFE2080 20000002
	ds_read_b128 a[36:39], v2 offset:8384                      // 0000000035BC: DBFE20C0 24000002
	v_mfma_f32_16x16x32_fp8_fp8 v[104:107], a[88:89], a[0:1], v[104:107]// 0000000035C4: D3F30068 1DA20158
	v_mfma_f32_16x16x32_fp8_fp8 v[104:107], a[90:91], a[2:3], v[104:107]// 0000000035CC: D3F30068 1DA2055A
	buffer_load_dwordx4 a[68:71], v52, s[24:27], 0 offen offset:1024// 0000000035D4: E05C1400 80864434
	v_mfma_f32_16x16x32_fp8_fp8 v[104:107], a[92:93], a[4:5], v[104:107]// 0000000035DC: D3F30068 1DA2095C
	v_mfma_f32_16x16x32_fp8_fp8 v[104:107], a[94:95], a[6:7], v[104:107]// 0000000035E4: D3F30068 1DA20D5E
	ds_read_b128 a[40:43], v2 offset:8832                      // 0000000035EC: DBFE2280 28000002
	ds_read_b128 a[44:47], v2 offset:8896                      // 0000000035F4: DBFE22C0 2C000002
	v_mfma_f32_16x16x32_fp8_fp8 v[92:95], a[80:81], a[8:9], v[92:95]// 0000000035FC: D3F3005C 1D721150
	v_mfma_f32_16x16x32_fp8_fp8 v[92:95], a[82:83], a[10:11], v[92:95]// 000000003604: D3F3005C 1D721552
	buffer_load_dwordx4 a[72:75], v53, s[24:27], 0 offen       // 00000000360C: E05C1000 80864835
	v_mfma_f32_16x16x32_fp8_fp8 v[92:95], a[84:85], a[12:13], v[92:95]// 000000003614: D3F3005C 1D721954
	v_mfma_f32_16x16x32_fp8_fp8 v[92:95], a[86:87], a[14:15], v[92:95]// 00000000361C: D3F3005C 1D721D56
	ds_read_b128 a[48:51], v2 offset:9344                      // 000000003624: DBFE2480 30000002
	ds_read_b128 a[52:55], v2 offset:9408                      // 00000000362C: DBFE24C0 34000002
	v_mfma_f32_16x16x32_fp8_fp8 v[108:111], a[88:89], a[8:9], v[108:111]// 000000003634: D3F3006C 1DB21158
	v_mfma_f32_16x16x32_fp8_fp8 v[108:111], a[90:91], a[10:11], v[108:111]// 00000000363C: D3F3006C 1DB2155A
	buffer_load_dwordx4 a[76:79], v53, s[24:27], 0 offen offset:1024// 000000003644: E05C1400 80864C35
	v_mfma_f32_16x16x32_fp8_fp8 v[108:111], a[92:93], a[12:13], v[108:111]// 00000000364C: D3F3006C 1DB2195C
	v_mfma_f32_16x16x32_fp8_fp8 v[108:111], a[94:95], a[14:15], v[108:111]// 000000003654: D3F3006C 1DB21D5E
	ds_read_b128 a[56:59], v2 offset:9856                      // 00000000365C: DBFE2680 38000002
	ds_read_b128 a[60:63], v2 offset:9920                      // 000000003664: DBFE26C0 3C000002
	v_mfma_f32_16x16x32_fp8_fp8 v[96:99], a[80:81], a[16:17], v[96:99]// 00000000366C: D3F30060 1D822150
	v_mfma_f32_16x16x32_fp8_fp8 v[96:99], a[82:83], a[18:19], v[96:99]// 000000003674: D3F30060 1D822552
	v_mfma_f32_16x16x32_fp8_fp8 v[96:99], a[84:85], a[20:21], v[96:99]// 00000000367C: D3F30060 1D822954
	v_mfma_f32_16x16x32_fp8_fp8 v[96:99], a[86:87], a[22:23], v[96:99]// 000000003684: D3F30060 1D822D56
	v_mfma_f32_16x16x32_fp8_fp8 v[112:115], a[88:89], a[16:17], v[112:115]// 00000000368C: D3F30070 1DC22158
	v_mfma_f32_16x16x32_fp8_fp8 v[112:115], a[90:91], a[18:19], v[112:115]// 000000003694: D3F30070 1DC2255A
	v_mfma_f32_16x16x32_fp8_fp8 v[112:115], a[92:93], a[20:21], v[112:115]// 00000000369C: D3F30070 1DC2295C
	v_mfma_f32_16x16x32_fp8_fp8 v[112:115], a[94:95], a[22:23], v[112:115]// 0000000036A4: D3F30070 1DC22D5E
	v_mfma_f32_16x16x32_fp8_fp8 v[100:103], a[80:81], a[24:25], v[100:103]// 0000000036AC: D3F30064 1D923150
	v_mfma_f32_16x16x32_fp8_fp8 v[100:103], a[82:83], a[26:27], v[100:103]// 0000000036B4: D3F30064 1D923552
	v_mfma_f32_16x16x32_fp8_fp8 v[100:103], a[84:85], a[28:29], v[100:103]// 0000000036BC: D3F30064 1D923954
	s_add_u32 s60, 0x180, s80                                  // 0000000036C4: 803C50FF 00000180
	s_cmp_lt_u32 s60, s81                                      // 0000000036CC: BF0A513C
	s_cselect_b32 s57, s57, 0                                  // 0000000036D0: 85398039
	v_mfma_f32_16x16x32_fp8_fp8 v[100:103], a[86:87], a[30:31], v[100:103]// 0000000036D4: D3F30064 1D923D56
	s_add_u32 s60, 0x100, s80                                  // 0000000036DC: 803C50FF 00000100
	s_cmp_lt_u32 s60, s81                                      // 0000000036E4: BF0A513C
	s_cselect_b32 s58, s58, 0                                  // 0000000036E8: 853A803A
	v_mfma_f32_16x16x32_fp8_fp8 v[116:119], a[88:89], a[24:25], v[116:119]// 0000000036EC: D3F30074 1DD23158
	s_add_u32 s24, s58, s24                                    // 0000000036F4: 8018183A
	s_addc_u32 s25, 0, s25                                     // 0000000036F8: 82191980
	v_mfma_f32_16x16x32_fp8_fp8 v[116:119], a[90:91], a[26:27], v[116:119]// 0000000036FC: D3F30074 1DD2355A
	s_add_u32 s20, s57, s20                                    // 000000003704: 80141439
	s_addc_u32 s21, 0, s21                                     // 000000003708: 82151580
	v_mfma_f32_16x16x32_fp8_fp8 v[116:119], a[92:93], a[28:29], v[116:119]// 00000000370C: D3F30074 1DD2395C
	s_add_u32 s84, s83, s84                                    // 000000003714: 80545453
	s_addc_u32 s85, 0, s85                                     // 000000003718: 82555580
	v_mfma_f32_16x16x32_fp8_fp8 v[116:119], a[94:95], a[30:31], v[116:119]// 00000000371C: D3F30074 1DD23D5E
	s_addk_i32 s80, 0x80                                       // 000000003724: B7500080
	s_cmp_lt_i32 s80, s81                                      // 000000003728: BF045150
	s_cbranch_scc0 label_0425                                  // 00000000372C: BF8400D9
	s_waitcnt vmcnt(2) lgkmcnt(0)                              // 000000003730: BF8C0072
	s_barrier                                                  // 000000003734: BF8A0000
	v_mfma_f32_16x16x32_fp8_fp8 v[56:59], a[64:65], a[32:33], v[56:59]// 000000003738: D3F30038 1CE24140
	v_mfma_f32_16x16x32_fp8_fp8 v[56:59], a[66:67], a[34:35], v[56:59]// 000000003740: D3F30038 1CE24542
	buffer_load_dwordx4 a[80:83], v52, s[84:87], 0 offen       // 000000003748: E05C1000 80955034
	v_mfma_f32_16x16x32_fp8_fp8 v[56:59], a[68:69], a[36:37], v[56:59]// 000000003750: D3F30038 1CE24944
	v_mfma_f32_16x16x32_fp8_fp8 v[56:59], a[70:71], a[38:39], v[56:59]// 000000003758: D3F30038 1CE24D46
	v_mfma_f32_16x16x32_fp8_fp8 v[60:63], a[64:65], a[40:41], v[60:63]// 000000003760: D3F3003C 1CF25140
	v_mfma_f32_16x16x32_fp8_fp8 v[60:63], a[66:67], a[42:43], v[60:63]// 000000003768: D3F3003C 1CF25542
	buffer_load_dwordx4 a[84:87], v52, s[84:87], 0 offen offset:1024// 000000003770: E05C1400 80955434
	v_mfma_f32_16x16x32_fp8_fp8 v[60:63], a[68:69], a[44:45], v[60:63]// 000000003778: D3F3003C 1CF25944
	v_mfma_f32_16x16x32_fp8_fp8 v[60:63], a[70:71], a[46:47], v[60:63]// 000000003780: D3F3003C 1CF25D46
	v_mfma_f32_16x16x32_fp8_fp8 v[64:67], a[64:65], a[48:49], v[64:67]// 000000003788: D3F30040 1D026140
	v_mfma_f32_16x16x32_fp8_fp8 v[64:67], a[66:67], a[50:51], v[64:67]// 000000003790: D3F30040 1D026542
	buffer_load_dwordx4 a[88:91], v53, s[84:87], 0 offen       // 000000003798: E05C1000 80955835
	v_mfma_f32_16x16x32_fp8_fp8 v[64:67], a[68:69], a[52:53], v[64:67]// 0000000037A0: D3F30040 1D026944
	v_mfma_f32_16x16x32_fp8_fp8 v[64:67], a[70:71], a[54:55], v[64:67]// 0000000037A8: D3F30040 1D026D46
	v_mfma_f32_16x16x32_fp8_fp8 v[68:71], a[64:65], a[56:57], v[68:71]// 0000000037B0: D3F30044 1D127140
	v_mfma_f32_16x16x32_fp8_fp8 v[68:71], a[66:67], a[58:59], v[68:71]// 0000000037B8: D3F30044 1D127542
	buffer_load_dwordx4 a[92:95], v53, s[84:87], 0 offen offset:1024// 0000000037C0: E05C1400 80955C35
	buffer_load_dword v44, s[20:23], 0 offen lds               // 0000000037C8: E0511000 8005002C
	s_add_u32 m0, 0x100, s49                                   // 0000000037D0: 807C31FF 00000100
	v_mfma_f32_16x16x32_fp8_fp8 v[68:71], a[68:69], a[60:61], v[68:71]// 0000000037D8: D3F30044 1D127944
	v_mfma_f32_16x16x32_fp8_fp8 v[68:71], a[70:71], a[62:63], v[68:71]// 0000000037E0: D3F30044 1D127D46
	buffer_load_dword v45, s[20:23], 0 offen lds               // 0000000037E8: E0511000 8005002D
	s_add_u32 m0, 0x200, s49                                   // 0000000037F0: 807C31FF 00000200
	s_waitcnt vmcnt(6)                                         // 0000000037F8: BF8C0F76
	v_mfma_f32_16x16x32_fp8_fp8 v[72:75], a[72:73], a[32:33], v[72:75]// 0000000037FC: D3F30048 1D224148
	v_mfma_f32_16x16x32_fp8_fp8 v[72:75], a[74:75], a[34:35], v[72:75]// 000000003804: D3F30048 1D22454A
	buffer_load_dword v46, s[20:23], 0 offen lds               // 00000000380C: E0511000 8005002E
	s_add_u32 m0, 0x300, s49                                   // 000000003814: 807C31FF 00000300
	v_mfma_f32_16x16x32_fp8_fp8 v[72:75], a[76:77], a[36:37], v[72:75]// 00000000381C: D3F30048 1D22494C
	v_mfma_f32_16x16x32_fp8_fp8 v[72:75], a[78:79], a[38:39], v[72:75]// 000000003824: D3F30048 1D224D4E
	buffer_load_dword v47, s[20:23], 0 offen lds               // 00000000382C: E0511000 8005002F
	s_add_u32 m0, 0x400, s49                                   // 000000003834: 807C31FF 00000400
	v_mfma_f32_16x16x32_fp8_fp8 v[76:79], a[72:73], a[40:41], v[76:79]// 00000000383C: D3F3004C 1D325148
	v_mfma_f32_16x16x32_fp8_fp8 v[76:79], a[74:75], a[42:43], v[76:79]// 000000003844: D3F3004C 1D32554A
	buffer_load_dword v48, s[20:23], 0 offen lds               // 00000000384C: E0511000 80050030
	s_add_u32 m0, 0x500, s49                                   // 000000003854: 807C31FF 00000500
	v_mfma_f32_16x16x32_fp8_fp8 v[76:79], a[76:77], a[44:45], v[76:79]// 00000000385C: D3F3004C 1D32594C
	v_mfma_f32_16x16x32_fp8_fp8 v[76:79], a[78:79], a[46:47], v[76:79]// 000000003864: D3F3004C 1D325D4E
	buffer_load_dword v49, s[20:23], 0 offen lds               // 00000000386C: E0511000 80050031
	s_add_u32 m0, 0x600, s49                                   // 000000003874: 807C31FF 00000600
	v_mfma_f32_16x16x32_fp8_fp8 v[80:83], a[72:73], a[48:49], v[80:83]// 00000000387C: D3F30050 1D426148
	v_mfma_f32_16x16x32_fp8_fp8 v[80:83], a[74:75], a[50:51], v[80:83]// 000000003884: D3F30050 1D42654A
	buffer_load_dword v50, s[20:23], 0 offen lds               // 00000000388C: E0511000 80050032
	s_add_u32 m0, 0x700, s49                                   // 000000003894: 807C31FF 00000700
	v_mfma_f32_16x16x32_fp8_fp8 v[80:83], a[76:77], a[52:53], v[80:83]// 00000000389C: D3F30050 1D42694C
	v_mfma_f32_16x16x32_fp8_fp8 v[80:83], a[78:79], a[54:55], v[80:83]// 0000000038A4: D3F30050 1D426D4E
	buffer_load_dword v51, s[20:23], 0 offen lds               // 0000000038AC: E0511000 80050033
	s_add_u32 m0, 0, s48                                       // 0000000038B4: 807C3080
	v_mfma_f32_16x16x32_fp8_fp8 v[84:87], a[72:73], a[56:57], v[84:87]// 0000000038B8: D3F30054 1D527148
	v_mfma_f32_16x16x32_fp8_fp8 v[84:87], a[74:75], a[58:59], v[84:87]// 0000000038C0: D3F30054 1D52754A
	s_add_u32 s60, 0x80, s80                                   // 0000000038C8: 803C50FF 00000080
	s_cmp_lt_u32 s60, s81                                      // 0000000038D0: BF0A513C
	s_cselect_b32 s83, s83, 0                                  // 0000000038D4: 85538053
	v_mfma_f32_16x16x32_fp8_fp8 v[84:87], a[76:77], a[60:61], v[84:87]// 0000000038D8: D3F30054 1D52794C
	v_mfma_f32_16x16x32_fp8_fp8 v[84:87], a[78:79], a[62:63], v[84:87]// 0000000038E0: D3F30054 1D527D4E
	s_waitcnt vmcnt(8)                                         // 0000000038E8: BF8C0F78
	v_mfma_f32_16x16x32_fp8_fp8 v[88:91], a[80:81], a[32:33], v[88:91]// 0000000038EC: D3F30058 1D624150
	v_mfma_f32_16x16x32_fp8_fp8 v[88:91], a[82:83], a[34:35], v[88:91]// 0000000038F4: D3F30058 1D624552
	buffer_load_dwordx4 a[64:67], v52, s[24:27], 0 offen       // 0000000038FC: E05C1000 80864034
	v_mfma_f32_16x16x32_fp8_fp8 v[88:91], a[84:85], a[36:37], v[88:91]// 000000003904: D3F30058 1D624954
	v_mfma_f32_16x16x32_fp8_fp8 v[88:91], a[86:87], a[38:39], v[88:91]// 00000000390C: D3F30058 1D624D56
	ds_read_b128 a[0:3], v2                                    // 000000003914: DBFE0000 00000002
	ds_read_b128 a[4:7], v2 offset:64                          // 00000000391C: DBFE0040 04000002
	v_mfma_f32_16x16x32_fp8_fp8 v[104:107], a[88:89], a[32:33], v[104:107]// 000000003924: D3F30068 1DA24158
	v_mfma_f32_16x16x32_fp8_fp8 v[104:107], a[90:91], a[34:35], v[104:107]// 00000000392C: D3F30068 1DA2455A
	buffer_load_dwordx4 a[68:71], v52, s[24:27], 0 offen offset:1024// 000000003934: E05C1400 80864434
	v_mfma_f32_16x16x32_fp8_fp8 v[104:107], a[92:93], a[36:37], v[104:107]// 00000000393C: D3F30068 1DA2495C
	v_mfma_f32_16x16x32_fp8_fp8 v[104:107], a[94:95], a[38:39], v[104:107]// 000000003944: D3F30068 1DA24D5E
	ds_read_b128 a[8:11], v2 offset:512                        // 00000000394C: DBFE0200 08000002
	ds_read_b128 a[12:15], v2 offset:576                       // 000000003954: DBFE0240 0C000002
	v_mfma_f32_16x16x32_fp8_fp8 v[92:95], a[80:81], a[40:41], v[92:95]// 00000000395C: D3F3005C 1D725150
	v_mfma_f32_16x16x32_fp8_fp8 v[92:95], a[82:83], a[42:43], v[92:95]// 000000003964: D3F3005C 1D725552
	buffer_load_dwordx4 a[72:75], v53, s[24:27], 0 offen       // 00000000396C: E05C1000 80864835
	v_mfma_f32_16x16x32_fp8_fp8 v[92:95], a[84:85], a[44:45], v[92:95]// 000000003974: D3F3005C 1D725954
	v_mfma_f32_16x16x32_fp8_fp8 v[92:95], a[86:87], a[46:47], v[92:95]// 00000000397C: D3F3005C 1D725D56
	ds_read_b128 a[16:19], v2 offset:1024                      // 000000003984: DBFE0400 10000002
	ds_read_b128 a[20:23], v2 offset:1088                      // 00000000398C: DBFE0440 14000002
	v_mfma_f32_16x16x32_fp8_fp8 v[108:111], a[88:89], a[40:41], v[108:111]// 000000003994: D3F3006C 1DB25158
	v_mfma_f32_16x16x32_fp8_fp8 v[108:111], a[90:91], a[42:43], v[108:111]// 00000000399C: D3F3006C 1DB2555A
	buffer_load_dwordx4 a[76:79], v53, s[24:27], 0 offen offset:1024// 0000000039A4: E05C1400 80864C35
	v_mfma_f32_16x16x32_fp8_fp8 v[108:111], a[92:93], a[44:45], v[108:111]// 0000000039AC: D3F3006C 1DB2595C
	v_mfma_f32_16x16x32_fp8_fp8 v[108:111], a[94:95], a[46:47], v[108:111]// 0000000039B4: D3F3006C 1DB25D5E
	ds_read_b128 a[24:27], v2 offset:1536                      // 0000000039BC: DBFE0600 18000002
	ds_read_b128 a[28:31], v2 offset:1600                      // 0000000039C4: DBFE0640 1C000002
	v_mfma_f32_16x16x32_fp8_fp8 v[96:99], a[80:81], a[48:49], v[96:99]// 0000000039CC: D3F30060 1D826150
	v_mfma_f32_16x16x32_fp8_fp8 v[96:99], a[82:83], a[50:51], v[96:99]// 0000000039D4: D3F30060 1D826552
	v_mfma_f32_16x16x32_fp8_fp8 v[96:99], a[84:85], a[52:53], v[96:99]// 0000000039DC: D3F30060 1D826954
	v_mfma_f32_16x16x32_fp8_fp8 v[96:99], a[86:87], a[54:55], v[96:99]// 0000000039E4: D3F30060 1D826D56
	v_mfma_f32_16x16x32_fp8_fp8 v[112:115], a[88:89], a[48:49], v[112:115]// 0000000039EC: D3F30070 1DC26158
	v_mfma_f32_16x16x32_fp8_fp8 v[112:115], a[90:91], a[50:51], v[112:115]// 0000000039F4: D3F30070 1DC2655A
	v_mfma_f32_16x16x32_fp8_fp8 v[112:115], a[92:93], a[52:53], v[112:115]// 0000000039FC: D3F30070 1DC2695C
	v_mfma_f32_16x16x32_fp8_fp8 v[112:115], a[94:95], a[54:55], v[112:115]// 000000003A04: D3F30070 1DC26D5E
	v_mfma_f32_16x16x32_fp8_fp8 v[100:103], a[80:81], a[56:57], v[100:103]// 000000003A0C: D3F30064 1D927150
	v_mfma_f32_16x16x32_fp8_fp8 v[100:103], a[82:83], a[58:59], v[100:103]// 000000003A14: D3F30064 1D927552
	v_mfma_f32_16x16x32_fp8_fp8 v[100:103], a[84:85], a[60:61], v[100:103]// 000000003A1C: D3F30064 1D927954
	s_add_u32 s60, 0x180, s80                                  // 000000003A24: 803C50FF 00000180
	s_cmp_lt_u32 s60, s81                                      // 000000003A2C: BF0A513C
	s_cselect_b32 s57, s57, 0                                  // 000000003A30: 85398039
	v_mfma_f32_16x16x32_fp8_fp8 v[100:103], a[86:87], a[62:63], v[100:103]// 000000003A34: D3F30064 1D927D56
	s_add_u32 s60, 0x100, s80                                  // 000000003A3C: 803C50FF 00000100
	s_cmp_lt_u32 s60, s81                                      // 000000003A44: BF0A513C
	s_cselect_b32 s58, s58, 0                                  // 000000003A48: 853A803A
	v_mfma_f32_16x16x32_fp8_fp8 v[116:119], a[88:89], a[56:57], v[116:119]// 000000003A4C: D3F30074 1DD27158
	s_add_u32 s24, s58, s24                                    // 000000003A54: 8018183A
	s_addc_u32 s25, 0, s25                                     // 000000003A58: 82191980
	v_mfma_f32_16x16x32_fp8_fp8 v[116:119], a[90:91], a[58:59], v[116:119]// 000000003A5C: D3F30074 1DD2755A
	s_add_u32 s20, s57, s20                                    // 000000003A64: 80141439
	s_addc_u32 s21, 0, s21                                     // 000000003A68: 82151580
	v_mfma_f32_16x16x32_fp8_fp8 v[116:119], a[92:93], a[60:61], v[116:119]// 000000003A6C: D3F30074 1DD2795C
	s_add_u32 s84, s83, s84                                    // 000000003A74: 80545453
	s_addc_u32 s85, 0, s85                                     // 000000003A78: 82555580
	v_mfma_f32_16x16x32_fp8_fp8 v[116:119], a[94:95], a[62:63], v[116:119]// 000000003A7C: D3F30074 1DD27D5E
	s_addk_i32 s80, 0x80                                       // 000000003A84: B7500080
	s_cmp_lt_i32 s80, s81                                      // 000000003A88: BF045150
	s_cbranch_scc0 label_0425                                  // 000000003A8C: BF840001
	s_branch label_0274                                        // 000000003A90: BF82FE4F

0000000000003a94 <label_0425>:
	v_mul_f32_dpp v56, v24, v56 row_newbcast:0 row_mask:0xf bank_mask:0xf// 000000003A94: 0A7070FA FF015018
	v_mul_f32_dpp v57, v24, v57 row_newbcast:1 row_mask:0xf bank_mask:0xf// 000000003A9C: 0A7272FA FF015118
	v_mul_f32_dpp v58, v24, v58 row_newbcast:2 row_mask:0xf bank_mask:0xf// 000000003AA4: 0A7474FA FF015218
	v_mul_f32_dpp v59, v24, v59 row_newbcast:3 row_mask:0xf bank_mask:0xf// 000000003AAC: 0A7676FA FF015318
	v_mul_f32_dpp v60, v24, v60 row_newbcast:0 row_mask:0xf bank_mask:0xf// 000000003AB4: 0A7878FA FF015018
	v_mul_f32_dpp v61, v24, v61 row_newbcast:1 row_mask:0xf bank_mask:0xf// 000000003ABC: 0A7A7AFA FF015118
	v_mul_f32_dpp v62, v24, v62 row_newbcast:2 row_mask:0xf bank_mask:0xf// 000000003AC4: 0A7C7CFA FF015218
	v_mul_f32_dpp v63, v24, v63 row_newbcast:3 row_mask:0xf bank_mask:0xf// 000000003ACC: 0A7E7EFA FF015318
	v_mul_f32_dpp v64, v24, v64 row_newbcast:0 row_mask:0xf bank_mask:0xf// 000000003AD4: 0A8080FA FF015018
	v_mul_f32_dpp v65, v24, v65 row_newbcast:1 row_mask:0xf bank_mask:0xf// 000000003ADC: 0A8282FA FF015118
	v_mul_f32_dpp v66, v24, v66 row_newbcast:2 row_mask:0xf bank_mask:0xf// 000000003AE4: 0A8484FA FF015218
	v_mul_f32_dpp v67, v24, v67 row_newbcast:3 row_mask:0xf bank_mask:0xf// 000000003AEC: 0A8686FA FF015318
	v_mul_f32_dpp v68, v24, v68 row_newbcast:0 row_mask:0xf bank_mask:0xf// 000000003AF4: 0A8888FA FF015018
	v_mul_f32_dpp v69, v24, v69 row_newbcast:1 row_mask:0xf bank_mask:0xf// 000000003AFC: 0A8A8AFA FF015118
	v_mul_f32_dpp v70, v24, v70 row_newbcast:2 row_mask:0xf bank_mask:0xf// 000000003B04: 0A8C8CFA FF015218
	v_mul_f32_dpp v71, v24, v71 row_newbcast:3 row_mask:0xf bank_mask:0xf// 000000003B0C: 0A8E8EFA FF015318
	v_mul_f32_dpp v72, v24, v72 row_newbcast:4 row_mask:0xf bank_mask:0xf// 000000003B14: 0A9090FA FF015418
	v_mul_f32_dpp v73, v24, v73 row_newbcast:5 row_mask:0xf bank_mask:0xf// 000000003B1C: 0A9292FA FF015518
	v_mul_f32_dpp v74, v24, v74 row_newbcast:6 row_mask:0xf bank_mask:0xf// 000000003B24: 0A9494FA FF015618
	v_mul_f32_dpp v75, v24, v75 row_newbcast:7 row_mask:0xf bank_mask:0xf// 000000003B2C: 0A9696FA FF015718
	v_mul_f32_dpp v76, v24, v76 row_newbcast:4 row_mask:0xf bank_mask:0xf// 000000003B34: 0A9898FA FF015418
	v_mul_f32_dpp v77, v24, v77 row_newbcast:5 row_mask:0xf bank_mask:0xf// 000000003B3C: 0A9A9AFA FF015518
	v_mul_f32_dpp v78, v24, v78 row_newbcast:6 row_mask:0xf bank_mask:0xf// 000000003B44: 0A9C9CFA FF015618
	v_mul_f32_dpp v79, v24, v79 row_newbcast:7 row_mask:0xf bank_mask:0xf// 000000003B4C: 0A9E9EFA FF015718
	v_mul_f32_dpp v80, v24, v80 row_newbcast:4 row_mask:0xf bank_mask:0xf// 000000003B54: 0AA0A0FA FF015418
	v_mul_f32_dpp v81, v24, v81 row_newbcast:5 row_mask:0xf bank_mask:0xf// 000000003B5C: 0AA2A2FA FF015518
	v_mul_f32_dpp v82, v24, v82 row_newbcast:6 row_mask:0xf bank_mask:0xf// 000000003B64: 0AA4A4FA FF015618
	v_mul_f32_dpp v83, v24, v83 row_newbcast:7 row_mask:0xf bank_mask:0xf// 000000003B6C: 0AA6A6FA FF015718
	v_mul_f32_dpp v84, v24, v84 row_newbcast:4 row_mask:0xf bank_mask:0xf// 000000003B74: 0AA8A8FA FF015418
	v_mul_f32_dpp v85, v24, v85 row_newbcast:5 row_mask:0xf bank_mask:0xf// 000000003B7C: 0AAAAAFA FF015518
	v_mul_f32_dpp v86, v24, v86 row_newbcast:6 row_mask:0xf bank_mask:0xf// 000000003B84: 0AACACFA FF015618
	v_mul_f32_dpp v87, v24, v87 row_newbcast:7 row_mask:0xf bank_mask:0xf// 000000003B8C: 0AAEAEFA FF015718
	v_mul_f32_dpp v88, v26, v88 row_newbcast:0 row_mask:0xf bank_mask:0xf// 000000003B94: 0AB0B0FA FF01501A
	v_mul_f32_dpp v89, v26, v89 row_newbcast:1 row_mask:0xf bank_mask:0xf// 000000003B9C: 0AB2B2FA FF01511A
	v_mul_f32_dpp v90, v26, v90 row_newbcast:2 row_mask:0xf bank_mask:0xf// 000000003BA4: 0AB4B4FA FF01521A
	v_mul_f32_dpp v91, v26, v91 row_newbcast:3 row_mask:0xf bank_mask:0xf// 000000003BAC: 0AB6B6FA FF01531A
	v_mul_f32_dpp v92, v26, v92 row_newbcast:0 row_mask:0xf bank_mask:0xf// 000000003BB4: 0AB8B8FA FF01501A
	v_mul_f32_dpp v93, v26, v93 row_newbcast:1 row_mask:0xf bank_mask:0xf// 000000003BBC: 0ABABAFA FF01511A
	v_mul_f32_dpp v94, v26, v94 row_newbcast:2 row_mask:0xf bank_mask:0xf// 000000003BC4: 0ABCBCFA FF01521A
	v_mul_f32_dpp v95, v26, v95 row_newbcast:3 row_mask:0xf bank_mask:0xf// 000000003BCC: 0ABEBEFA FF01531A
	v_mul_f32_dpp v96, v26, v96 row_newbcast:0 row_mask:0xf bank_mask:0xf// 000000003BD4: 0AC0C0FA FF01501A
	v_mul_f32_dpp v97, v26, v97 row_newbcast:1 row_mask:0xf bank_mask:0xf// 000000003BDC: 0AC2C2FA FF01511A
	v_mul_f32_dpp v98, v26, v98 row_newbcast:2 row_mask:0xf bank_mask:0xf// 000000003BE4: 0AC4C4FA FF01521A
	v_mul_f32_dpp v99, v26, v99 row_newbcast:3 row_mask:0xf bank_mask:0xf// 000000003BEC: 0AC6C6FA FF01531A
	v_mul_f32_dpp v100, v26, v100 row_newbcast:0 row_mask:0xf bank_mask:0xf// 000000003BF4: 0AC8C8FA FF01501A
	v_mul_f32_dpp v101, v26, v101 row_newbcast:1 row_mask:0xf bank_mask:0xf// 000000003BFC: 0ACACAFA FF01511A
	v_mul_f32_dpp v102, v26, v102 row_newbcast:2 row_mask:0xf bank_mask:0xf// 000000003C04: 0ACCCCFA FF01521A
	v_mul_f32_dpp v103, v26, v103 row_newbcast:3 row_mask:0xf bank_mask:0xf// 000000003C0C: 0ACECEFA FF01531A
	v_mul_f32_dpp v104, v26, v104 row_newbcast:4 row_mask:0xf bank_mask:0xf// 000000003C14: 0AD0D0FA FF01541A
	v_mul_f32_dpp v105, v26, v105 row_newbcast:5 row_mask:0xf bank_mask:0xf// 000000003C1C: 0AD2D2FA FF01551A
	v_mul_f32_dpp v106, v26, v106 row_newbcast:6 row_mask:0xf bank_mask:0xf// 000000003C24: 0AD4D4FA FF01561A
	v_mul_f32_dpp v107, v26, v107 row_newbcast:7 row_mask:0xf bank_mask:0xf// 000000003C2C: 0AD6D6FA FF01571A
	v_mul_f32_dpp v108, v26, v108 row_newbcast:4 row_mask:0xf bank_mask:0xf// 000000003C34: 0AD8D8FA FF01541A
	v_mul_f32_dpp v109, v26, v109 row_newbcast:5 row_mask:0xf bank_mask:0xf// 000000003C3C: 0ADADAFA FF01551A
	v_mul_f32_dpp v110, v26, v110 row_newbcast:6 row_mask:0xf bank_mask:0xf// 000000003C44: 0ADCDCFA FF01561A
	v_mul_f32_dpp v111, v26, v111 row_newbcast:7 row_mask:0xf bank_mask:0xf// 000000003C4C: 0ADEDEFA FF01571A
	v_mul_f32_dpp v112, v26, v112 row_newbcast:4 row_mask:0xf bank_mask:0xf// 000000003C54: 0AE0E0FA FF01541A
	v_mul_f32_dpp v113, v26, v113 row_newbcast:5 row_mask:0xf bank_mask:0xf// 000000003C5C: 0AE2E2FA FF01551A
	v_mul_f32_dpp v114, v26, v114 row_newbcast:6 row_mask:0xf bank_mask:0xf// 000000003C64: 0AE4E4FA FF01561A
	v_mul_f32_dpp v115, v26, v115 row_newbcast:7 row_mask:0xf bank_mask:0xf// 000000003C6C: 0AE6E6FA FF01571A
	v_mul_f32_dpp v116, v26, v116 row_newbcast:4 row_mask:0xf bank_mask:0xf// 000000003C74: 0AE8E8FA FF01541A
	v_mul_f32_dpp v117, v26, v117 row_newbcast:5 row_mask:0xf bank_mask:0xf// 000000003C7C: 0AEAEAFA FF01551A
	v_mul_f32_dpp v118, v26, v118 row_newbcast:6 row_mask:0xf bank_mask:0xf// 000000003C84: 0AECECFA FF01561A
	v_mul_f32_dpp v119, v26, v119 row_newbcast:7 row_mask:0xf bank_mask:0xf// 000000003C8C: 0AEEEEFA FF01571A
	v_mul_f32_e32 v32, v32, v120                               // 000000003C94: 0A40F120
	v_mov_b32_e32 v4, v32                                      // 000000003C98: 7E080320
	v_mov_b32_e32 v5, v4                                       // 000000003C9C: 7E0A0304
	v_pk_mul_f32 v[56:57], v[4:5], v[56:57]                    // 000000003CA0: D3B14038 18027104
	v_pk_mul_f32 v[88:89], v[4:5], v[88:89]                    // 000000003CA8: D3B14058 1802B104
	v_pk_mul_f32 v[58:59], v[4:5], v[58:59]                    // 000000003CB0: D3B1403A 18027504
	v_pk_mul_f32 v[90:91], v[4:5], v[90:91]                    // 000000003CB8: D3B1405A 1802B504
	v_pk_mul_f32 v[72:73], v[4:5], v[72:73]                    // 000000003CC0: D3B14048 18029104
	v_pk_mul_f32 v[104:105], v[4:5], v[104:105]                // 000000003CC8: D3B14068 1802D104
	v_pk_mul_f32 v[74:75], v[4:5], v[74:75]                    // 000000003CD0: D3B1404A 18029504
	v_pk_mul_f32 v[106:107], v[4:5], v[106:107]                // 000000003CD8: D3B1406A 1802D504
	v_mul_f32_e32 v33, v33, v121                               // 000000003CE0: 0A42F321
	v_mov_b32_e32 v4, v33                                      // 000000003CE4: 7E080321
	v_mov_b32_e32 v5, v4                                       // 000000003CE8: 7E0A0304
	v_pk_mul_f32 v[60:61], v[4:5], v[60:61]                    // 000000003CEC: D3B1403C 18027904
	v_pk_mul_f32 v[92:93], v[4:5], v[92:93]                    // 000000003CF4: D3B1405C 1802B904
	v_pk_mul_f32 v[62:63], v[4:5], v[62:63]                    // 000000003CFC: D3B1403E 18027D04
	v_pk_mul_f32 v[94:95], v[4:5], v[94:95]                    // 000000003D04: D3B1405E 1802BD04
	v_pk_mul_f32 v[76:77], v[4:5], v[76:77]                    // 000000003D0C: D3B1404C 18029904
	v_pk_mul_f32 v[108:109], v[4:5], v[108:109]                // 000000003D14: D3B1406C 1802D904
	v_pk_mul_f32 v[78:79], v[4:5], v[78:79]                    // 000000003D1C: D3B1404E 18029D04
	v_pk_mul_f32 v[110:111], v[4:5], v[110:111]                // 000000003D24: D3B1406E 1802DD04
	v_mul_f32_e32 v34, v34, v122                               // 000000003D2C: 0A44F522
	v_mov_b32_e32 v4, v34                                      // 000000003D30: 7E080322
	v_mov_b32_e32 v5, v4                                       // 000000003D34: 7E0A0304
	v_pk_mul_f32 v[64:65], v[4:5], v[64:65]                    // 000000003D38: D3B14040 18028104
	v_pk_mul_f32 v[96:97], v[4:5], v[96:97]                    // 000000003D40: D3B14060 1802C104
	v_pk_mul_f32 v[66:67], v[4:5], v[66:67]                    // 000000003D48: D3B14042 18028504
	v_pk_mul_f32 v[98:99], v[4:5], v[98:99]                    // 000000003D50: D3B14062 1802C504
	v_pk_mul_f32 v[80:81], v[4:5], v[80:81]                    // 000000003D58: D3B14050 1802A104
	v_pk_mul_f32 v[112:113], v[4:5], v[112:113]                // 000000003D60: D3B14070 1802E104
	v_pk_mul_f32 v[82:83], v[4:5], v[82:83]                    // 000000003D68: D3B14052 1802A504
	v_pk_mul_f32 v[114:115], v[4:5], v[114:115]                // 000000003D70: D3B14072 1802E504
	v_mul_f32_e32 v35, v35, v123                               // 000000003D78: 0A46F723
	v_mov_b32_e32 v4, v35                                      // 000000003D7C: 7E080323
	v_mov_b32_e32 v5, v4                                       // 000000003D80: 7E0A0304
	v_pk_mul_f32 v[68:69], v[4:5], v[68:69]                    // 000000003D84: D3B14044 18028904
	v_pk_mul_f32 v[100:101], v[4:5], v[100:101]                // 000000003D8C: D3B14064 1802C904
	v_pk_mul_f32 v[70:71], v[4:5], v[70:71]                    // 000000003D94: D3B14046 18028D04
	v_pk_mul_f32 v[102:103], v[4:5], v[102:103]                // 000000003D9C: D3B14066 1802CD04
	v_pk_mul_f32 v[84:85], v[4:5], v[84:85]                    // 000000003DA4: D3B14054 1802A904
	v_pk_mul_f32 v[116:117], v[4:5], v[116:117]                // 000000003DAC: D3B14074 1802E904
	v_pk_mul_f32 v[86:87], v[4:5], v[86:87]                    // 000000003DB4: D3B14056 1802AD04
	v_pk_mul_f32 v[118:119], v[4:5], v[118:119]                // 000000003DBC: D3B14076 1802ED04
	s_cmp_eq_u32 s88, 0                                        // 000000003DC4: BF068058
	s_cbranch_scc0 label_09B4                                  // 000000003DC8: BF8404C1
	s_cmp_eq_u32 s89, 0                                        // 000000003DCC: BF068059
	s_cbranch_scc1 label_063A                                  // 000000003DD0: BF850145
	v_mov_b32_e32 v8, v1                                       // 000000003DD4: 7E100301
	v_mov_b32_e32 v9, v1                                       // 000000003DD8: 7E120301
	s_mov_b32 s60, s6                                          // 000000003DDC: BEBC0006
	s_mov_b32 s61, s6                                          // 000000003DE0: BEBD0006
	v_pk_mul_f32 v[4:5], v[56:57], v[56:57]                    // 000000003DE4: D3B14004 18027138
	v_pk_mul_f32 v[6:7], v[58:59], v[58:59]                    // 000000003DEC: D3B14006 1802753A
	v_pk_fma_f32 v[4:5], v[4:5], s[78:79], v[8:9]              // 000000003DF4: D3B04004 1C209D04
	v_pk_fma_f32 v[6:7], v[6:7], s[78:79], v[8:9]              // 000000003DFC: D3B04006 1C209D06
	v_pk_mul_f32 v[4:5], v[4:5], v[56:57]                      // 000000003E04: D3B14004 18027104
	v_pk_mul_f32 v[6:7], v[6:7], v[58:59]                      // 000000003E0C: D3B14006 18027506
	v_pk_mul_f32 v[4:5], v[4:5], s[60:61]                      // 000000003E14: D3B14004 18007904
	v_pk_mul_f32 v[6:7], v[6:7], s[60:61]                      // 000000003E1C: D3B14006 18007906
	v_exp_f32_e32 v4, v4                                       // 000000003E24: 7E084104
	v_exp_f32_e32 v5, v5                                       // 000000003E28: 7E0A4105
	v_exp_f32_e32 v6, v6                                       // 000000003E2C: 7E0C4106
	v_exp_f32_e32 v7, v7                                       // 000000003E30: 7E0E4107
	v_add_f32_e64 v4, v4, 1.0                                  // 000000003E34: D1010004 0001E504
	v_add_f32_e64 v5, v5, 1.0                                  // 000000003E3C: D1010005 0001E505
	v_add_f32_e64 v6, v6, 1.0                                  // 000000003E44: D1010006 0001E506
	v_add_f32_e64 v7, v7, 1.0                                  // 000000003E4C: D1010007 0001E507
	v_rcp_f32_e32 v4, v4                                       // 000000003E54: 7E084504
	v_rcp_f32_e32 v5, v5                                       // 000000003E58: 7E0A4505
	v_rcp_f32_e32 v6, v6                                       // 000000003E5C: 7E0C4506
	v_rcp_f32_e32 v7, v7                                       // 000000003E60: 7E0E4507
	v_mul_f32_e32 v56, v56, v4                                 // 000000003E64: 0A700938
	v_mul_f32_e32 v57, v57, v5                                 // 000000003E68: 0A720B39
	v_mul_f32_e32 v58, v58, v6                                 // 000000003E6C: 0A740D3A
	v_mul_f32_e32 v59, v59, v7                                 // 000000003E70: 0A760F3B
	v_mul_f32_e32 v56, v56, v88                                // 000000003E74: 0A70B138
	v_mul_f32_e32 v57, v57, v89                                // 000000003E78: 0A72B339
	v_mul_f32_e32 v58, v58, v90                                // 000000003E7C: 0A74B53A
	v_mul_f32_e32 v59, v59, v91                                // 000000003E80: 0A76B73B
	v_pk_mul_f32 v[4:5], v[60:61], v[60:61]                    // 000000003E84: D3B14004 1802793C
	v_pk_mul_f32 v[6:7], v[62:63], v[62:63]                    // 000000003E8C: D3B14006 18027D3E
	v_pk_fma_f32 v[4:5], v[4:5], s[78:79], v[8:9]              // 000000003E94: D3B04004 1C209D04
	v_pk_fma_f32 v[6:7], v[6:7], s[78:79], v[8:9]              // 000000003E9C: D3B04006 1C209D06
	v_pk_mul_f32 v[4:5], v[4:5], v[60:61]                      // 000000003EA4: D3B14004 18027904
	v_pk_mul_f32 v[6:7], v[6:7], v[62:63]                      // 000000003EAC: D3B14006 18027D06
	v_pk_mul_f32 v[4:5], v[4:5], s[60:61]                      // 000000003EB4: D3B14004 18007904
	v_pk_mul_f32 v[6:7], v[6:7], s[60:61]                      // 000000003EBC: D3B14006 18007906
	v_exp_f32_e32 v4, v4                                       // 000000003EC4: 7E084104
	v_exp_f32_e32 v5, v5                                       // 000000003EC8: 7E0A4105
	v_exp_f32_e32 v6, v6                                       // 000000003ECC: 7E0C4106
	v_exp_f32_e32 v7, v7                                       // 000000003ED0: 7E0E4107
	v_add_f32_e64 v4, v4, 1.0                                  // 000000003ED4: D1010004 0001E504
	v_add_f32_e64 v5, v5, 1.0                                  // 000000003EDC: D1010005 0001E505
	v_add_f32_e64 v6, v6, 1.0                                  // 000000003EE4: D1010006 0001E506
	v_add_f32_e64 v7, v7, 1.0                                  // 000000003EEC: D1010007 0001E507
	v_rcp_f32_e32 v4, v4                                       // 000000003EF4: 7E084504
	v_rcp_f32_e32 v5, v5                                       // 000000003EF8: 7E0A4505
	v_rcp_f32_e32 v6, v6                                       // 000000003EFC: 7E0C4506
	v_rcp_f32_e32 v7, v7                                       // 000000003F00: 7E0E4507
	v_mul_f32_e32 v60, v60, v4                                 // 000000003F04: 0A78093C
	v_mul_f32_e32 v61, v61, v5                                 // 000000003F08: 0A7A0B3D
	v_mul_f32_e32 v62, v62, v6                                 // 000000003F0C: 0A7C0D3E
	v_mul_f32_e32 v63, v63, v7                                 // 000000003F10: 0A7E0F3F
	v_mul_f32_e32 v60, v60, v92                                // 000000003F14: 0A78B93C
	v_mul_f32_e32 v61, v61, v93                                // 000000003F18: 0A7ABB3D
	v_mul_f32_e32 v62, v62, v94                                // 000000003F1C: 0A7CBD3E
	v_mul_f32_e32 v63, v63, v95                                // 000000003F20: 0A7EBF3F
	v_pk_mul_f32 v[4:5], v[64:65], v[64:65]                    // 000000003F24: D3B14004 18028140
	v_pk_mul_f32 v[6:7], v[66:67], v[66:67]                    // 000000003F2C: D3B14006 18028542
	v_pk_fma_f32 v[4:5], v[4:5], s[78:79], v[8:9]              // 000000003F34: D3B04004 1C209D04
	v_pk_fma_f32 v[6:7], v[6:7], s[78:79], v[8:9]              // 000000003F3C: D3B04006 1C209D06
	v_pk_mul_f32 v[4:5], v[4:5], v[64:65]                      // 000000003F44: D3B14004 18028104
	v_pk_mul_f32 v[6:7], v[6:7], v[66:67]                      // 000000003F4C: D3B14006 18028506
	v_pk_mul_f32 v[4:5], v[4:5], s[60:61]                      // 000000003F54: D3B14004 18007904
	v_pk_mul_f32 v[6:7], v[6:7], s[60:61]                      // 000000003F5C: D3B14006 18007906
	v_exp_f32_e32 v4, v4                                       // 000000003F64: 7E084104
	v_exp_f32_e32 v5, v5                                       // 000000003F68: 7E0A4105
	v_exp_f32_e32 v6, v6                                       // 000000003F6C: 7E0C4106
	v_exp_f32_e32 v7, v7                                       // 000000003F70: 7E0E4107
	v_add_f32_e64 v4, v4, 1.0                                  // 000000003F74: D1010004 0001E504
	v_add_f32_e64 v5, v5, 1.0                                  // 000000003F7C: D1010005 0001E505
	v_add_f32_e64 v6, v6, 1.0                                  // 000000003F84: D1010006 0001E506
	v_add_f32_e64 v7, v7, 1.0                                  // 000000003F8C: D1010007 0001E507
	v_rcp_f32_e32 v4, v4                                       // 000000003F94: 7E084504
	v_rcp_f32_e32 v5, v5                                       // 000000003F98: 7E0A4505
	v_rcp_f32_e32 v6, v6                                       // 000000003F9C: 7E0C4506
	v_rcp_f32_e32 v7, v7                                       // 000000003FA0: 7E0E4507
	v_mul_f32_e32 v64, v64, v4                                 // 000000003FA4: 0A800940
	v_mul_f32_e32 v65, v65, v5                                 // 000000003FA8: 0A820B41
	v_mul_f32_e32 v66, v66, v6                                 // 000000003FAC: 0A840D42
	v_mul_f32_e32 v67, v67, v7                                 // 000000003FB0: 0A860F43
	v_mul_f32_e32 v64, v64, v96                                // 000000003FB4: 0A80C140
	v_mul_f32_e32 v65, v65, v97                                // 000000003FB8: 0A82C341
	v_mul_f32_e32 v66, v66, v98                                // 000000003FBC: 0A84C542
	v_mul_f32_e32 v67, v67, v99                                // 000000003FC0: 0A86C743
	v_pk_mul_f32 v[4:5], v[68:69], v[68:69]                    // 000000003FC4: D3B14004 18028944
	v_pk_mul_f32 v[6:7], v[70:71], v[70:71]                    // 000000003FCC: D3B14006 18028D46
	v_pk_fma_f32 v[4:5], v[4:5], s[78:79], v[8:9]              // 000000003FD4: D3B04004 1C209D04
	v_pk_fma_f32 v[6:7], v[6:7], s[78:79], v[8:9]              // 000000003FDC: D3B04006 1C209D06
	v_pk_mul_f32 v[4:5], v[4:5], v[68:69]                      // 000000003FE4: D3B14004 18028904
	v_pk_mul_f32 v[6:7], v[6:7], v[70:71]                      // 000000003FEC: D3B14006 18028D06
	v_pk_mul_f32 v[4:5], v[4:5], s[60:61]                      // 000000003FF4: D3B14004 18007904
	v_pk_mul_f32 v[6:7], v[6:7], s[60:61]                      // 000000003FFC: D3B14006 18007906
	v_exp_f32_e32 v4, v4                                       // 000000004004: 7E084104
	v_exp_f32_e32 v5, v5                                       // 000000004008: 7E0A4105
	v_exp_f32_e32 v6, v6                                       // 00000000400C: 7E0C4106
	v_exp_f32_e32 v7, v7                                       // 000000004010: 7E0E4107
	v_add_f32_e64 v4, v4, 1.0                                  // 000000004014: D1010004 0001E504
	v_add_f32_e64 v5, v5, 1.0                                  // 00000000401C: D1010005 0001E505
	v_add_f32_e64 v6, v6, 1.0                                  // 000000004024: D1010006 0001E506
	v_add_f32_e64 v7, v7, 1.0                                  // 00000000402C: D1010007 0001E507
	v_rcp_f32_e32 v4, v4                                       // 000000004034: 7E084504
	v_rcp_f32_e32 v5, v5                                       // 000000004038: 7E0A4505
	v_rcp_f32_e32 v6, v6                                       // 00000000403C: 7E0C4506
	v_rcp_f32_e32 v7, v7                                       // 000000004040: 7E0E4507
	v_mul_f32_e32 v68, v68, v4                                 // 000000004044: 0A880944
	v_mul_f32_e32 v69, v69, v5                                 // 000000004048: 0A8A0B45
	v_mul_f32_e32 v70, v70, v6                                 // 00000000404C: 0A8C0D46
	v_mul_f32_e32 v71, v71, v7                                 // 000000004050: 0A8E0F47
	v_mul_f32_e32 v68, v68, v100                               // 000000004054: 0A88C944
	v_mul_f32_e32 v69, v69, v101                               // 000000004058: 0A8ACB45
	v_mul_f32_e32 v70, v70, v102                               // 00000000405C: 0A8CCD46
	v_mul_f32_e32 v71, v71, v103                               // 000000004060: 0A8ECF47
	v_pk_mul_f32 v[4:5], v[72:73], v[72:73]                    // 000000004064: D3B14004 18029148
	v_pk_mul_f32 v[6:7], v[74:75], v[74:75]                    // 00000000406C: D3B14006 1802954A
	v_pk_fma_f32 v[4:5], v[4:5], s[78:79], v[8:9]              // 000000004074: D3B04004 1C209D04
	v_pk_fma_f32 v[6:7], v[6:7], s[78:79], v[8:9]              // 00000000407C: D3B04006 1C209D06
	v_pk_mul_f32 v[4:5], v[4:5], v[72:73]                      // 000000004084: D3B14004 18029104
	v_pk_mul_f32 v[6:7], v[6:7], v[74:75]                      // 00000000408C: D3B14006 18029506
	v_pk_mul_f32 v[4:5], v[4:5], s[60:61]                      // 000000004094: D3B14004 18007904
	v_pk_mul_f32 v[6:7], v[6:7], s[60:61]                      // 00000000409C: D3B14006 18007906
	v_exp_f32_e32 v4, v4                                       // 0000000040A4: 7E084104
	v_exp_f32_e32 v5, v5                                       // 0000000040A8: 7E0A4105
	v_exp_f32_e32 v6, v6                                       // 0000000040AC: 7E0C4106
	v_exp_f32_e32 v7, v7                                       // 0000000040B0: 7E0E4107
	v_add_f32_e64 v4, v4, 1.0                                  // 0000000040B4: D1010004 0001E504
	v_add_f32_e64 v5, v5, 1.0                                  // 0000000040BC: D1010005 0001E505
	v_add_f32_e64 v6, v6, 1.0                                  // 0000000040C4: D1010006 0001E506
	v_add_f32_e64 v7, v7, 1.0                                  // 0000000040CC: D1010007 0001E507
	v_rcp_f32_e32 v4, v4                                       // 0000000040D4: 7E084504
	v_rcp_f32_e32 v5, v5                                       // 0000000040D8: 7E0A4505
	v_rcp_f32_e32 v6, v6                                       // 0000000040DC: 7E0C4506
	v_rcp_f32_e32 v7, v7                                       // 0000000040E0: 7E0E4507
	v_mul_f32_e32 v72, v72, v4                                 // 0000000040E4: 0A900948
	v_mul_f32_e32 v73, v73, v5                                 // 0000000040E8: 0A920B49
	v_mul_f32_e32 v74, v74, v6                                 // 0000000040EC: 0A940D4A
	v_mul_f32_e32 v75, v75, v7                                 // 0000000040F0: 0A960F4B
	v_mul_f32_e32 v72, v72, v104                               // 0000000040F4: 0A90D148
	v_mul_f32_e32 v73, v73, v105                               // 0000000040F8: 0A92D349
	v_mul_f32_e32 v74, v74, v106                               // 0000000040FC: 0A94D54A
	v_mul_f32_e32 v75, v75, v107                               // 000000004100: 0A96D74B
	v_pk_mul_f32 v[4:5], v[76:77], v[76:77]                    // 000000004104: D3B14004 1802994C
	v_pk_mul_f32 v[6:7], v[78:79], v[78:79]                    // 00000000410C: D3B14006 18029D4E
	v_pk_fma_f32 v[4:5], v[4:5], s[78:79], v[8:9]              // 000000004114: D3B04004 1C209D04
	v_pk_fma_f32 v[6:7], v[6:7], s[78:79], v[8:9]              // 00000000411C: D3B04006 1C209D06
	v_pk_mul_f32 v[4:5], v[4:5], v[76:77]                      // 000000004124: D3B14004 18029904
	v_pk_mul_f32 v[6:7], v[6:7], v[78:79]                      // 00000000412C: D3B14006 18029D06
	v_pk_mul_f32 v[4:5], v[4:5], s[60:61]                      // 000000004134: D3B14004 18007904
	v_pk_mul_f32 v[6:7], v[6:7], s[60:61]                      // 00000000413C: D3B14006 18007906
	v_exp_f32_e32 v4, v4                                       // 000000004144: 7E084104
	v_exp_f32_e32 v5, v5                                       // 000000004148: 7E0A4105
	v_exp_f32_e32 v6, v6                                       // 00000000414C: 7E0C4106
	v_exp_f32_e32 v7, v7                                       // 000000004150: 7E0E4107
	v_add_f32_e64 v4, v4, 1.0                                  // 000000004154: D1010004 0001E504
	v_add_f32_e64 v5, v5, 1.0                                  // 00000000415C: D1010005 0001E505
	v_add_f32_e64 v6, v6, 1.0                                  // 000000004164: D1010006 0001E506
	v_add_f32_e64 v7, v7, 1.0                                  // 00000000416C: D1010007 0001E507
	v_rcp_f32_e32 v4, v4                                       // 000000004174: 7E084504
	v_rcp_f32_e32 v5, v5                                       // 000000004178: 7E0A4505
	v_rcp_f32_e32 v6, v6                                       // 00000000417C: 7E0C4506
	v_rcp_f32_e32 v7, v7                                       // 000000004180: 7E0E4507
	v_mul_f32_e32 v76, v76, v4                                 // 000000004184: 0A98094C
	v_mul_f32_e32 v77, v77, v5                                 // 000000004188: 0A9A0B4D
	v_mul_f32_e32 v78, v78, v6                                 // 00000000418C: 0A9C0D4E
	v_mul_f32_e32 v79, v79, v7                                 // 000000004190: 0A9E0F4F
	v_mul_f32_e32 v76, v76, v108                               // 000000004194: 0A98D94C
	v_mul_f32_e32 v77, v77, v109                               // 000000004198: 0A9ADB4D
	v_mul_f32_e32 v78, v78, v110                               // 00000000419C: 0A9CDD4E
	v_mul_f32_e32 v79, v79, v111                               // 0000000041A0: 0A9EDF4F
	v_pk_mul_f32 v[4:5], v[80:81], v[80:81]                    // 0000000041A4: D3B14004 1802A150
	v_pk_mul_f32 v[6:7], v[82:83], v[82:83]                    // 0000000041AC: D3B14006 1802A552
	v_pk_fma_f32 v[4:5], v[4:5], s[78:79], v[8:9]              // 0000000041B4: D3B04004 1C209D04
	v_pk_fma_f32 v[6:7], v[6:7], s[78:79], v[8:9]              // 0000000041BC: D3B04006 1C209D06
	v_pk_mul_f32 v[4:5], v[4:5], v[80:81]                      // 0000000041C4: D3B14004 1802A104
	v_pk_mul_f32 v[6:7], v[6:7], v[82:83]                      // 0000000041CC: D3B14006 1802A506
	v_pk_mul_f32 v[4:5], v[4:5], s[60:61]                      // 0000000041D4: D3B14004 18007904
	v_pk_mul_f32 v[6:7], v[6:7], s[60:61]                      // 0000000041DC: D3B14006 18007906
	v_exp_f32_e32 v4, v4                                       // 0000000041E4: 7E084104
	v_exp_f32_e32 v5, v5                                       // 0000000041E8: 7E0A4105
	v_exp_f32_e32 v6, v6                                       // 0000000041EC: 7E0C4106
	v_exp_f32_e32 v7, v7                                       // 0000000041F0: 7E0E4107
	v_add_f32_e64 v4, v4, 1.0                                  // 0000000041F4: D1010004 0001E504
	v_add_f32_e64 v5, v5, 1.0                                  // 0000000041FC: D1010005 0001E505
	v_add_f32_e64 v6, v6, 1.0                                  // 000000004204: D1010006 0001E506
	v_add_f32_e64 v7, v7, 1.0                                  // 00000000420C: D1010007 0001E507
	v_rcp_f32_e32 v4, v4                                       // 000000004214: 7E084504
	v_rcp_f32_e32 v5, v5                                       // 000000004218: 7E0A4505
	v_rcp_f32_e32 v6, v6                                       // 00000000421C: 7E0C4506
	v_rcp_f32_e32 v7, v7                                       // 000000004220: 7E0E4507
	v_mul_f32_e32 v80, v80, v4                                 // 000000004224: 0AA00950
	v_mul_f32_e32 v81, v81, v5                                 // 000000004228: 0AA20B51
	v_mul_f32_e32 v82, v82, v6                                 // 00000000422C: 0AA40D52
	v_mul_f32_e32 v83, v83, v7                                 // 000000004230: 0AA60F53
	v_mul_f32_e32 v80, v80, v112                               // 000000004234: 0AA0E150
	v_mul_f32_e32 v81, v81, v113                               // 000000004238: 0AA2E351
	v_mul_f32_e32 v82, v82, v114                               // 00000000423C: 0AA4E552
	v_mul_f32_e32 v83, v83, v115                               // 000000004240: 0AA6E753
	v_pk_mul_f32 v[4:5], v[84:85], v[84:85]                    // 000000004244: D3B14004 1802A954
	v_pk_mul_f32 v[6:7], v[86:87], v[86:87]                    // 00000000424C: D3B14006 1802AD56
	v_pk_fma_f32 v[4:5], v[4:5], s[78:79], v[8:9]              // 000000004254: D3B04004 1C209D04
	v_pk_fma_f32 v[6:7], v[6:7], s[78:79], v[8:9]              // 00000000425C: D3B04006 1C209D06
	v_pk_mul_f32 v[4:5], v[4:5], v[84:85]                      // 000000004264: D3B14004 1802A904
	v_pk_mul_f32 v[6:7], v[6:7], v[86:87]                      // 00000000426C: D3B14006 1802AD06
	v_pk_mul_f32 v[4:5], v[4:5], s[60:61]                      // 000000004274: D3B14004 18007904
	v_pk_mul_f32 v[6:7], v[6:7], s[60:61]                      // 00000000427C: D3B14006 18007906
	v_exp_f32_e32 v4, v4                                       // 000000004284: 7E084104
	v_exp_f32_e32 v5, v5                                       // 000000004288: 7E0A4105
	v_exp_f32_e32 v6, v6                                       // 00000000428C: 7E0C4106
	v_exp_f32_e32 v7, v7                                       // 000000004290: 7E0E4107
	v_add_f32_e64 v4, v4, 1.0                                  // 000000004294: D1010004 0001E504
	v_add_f32_e64 v5, v5, 1.0                                  // 00000000429C: D1010005 0001E505
	v_add_f32_e64 v6, v6, 1.0                                  // 0000000042A4: D1010006 0001E506
	v_add_f32_e64 v7, v7, 1.0                                  // 0000000042AC: D1010007 0001E507
	v_rcp_f32_e32 v4, v4                                       // 0000000042B4: 7E084504
	v_rcp_f32_e32 v5, v5                                       // 0000000042B8: 7E0A4505
	v_rcp_f32_e32 v6, v6                                       // 0000000042BC: 7E0C4506
	v_rcp_f32_e32 v7, v7                                       // 0000000042C0: 7E0E4507
	v_mul_f32_e32 v84, v84, v4                                 // 0000000042C4: 0AA80954
	v_mul_f32_e32 v85, v85, v5                                 // 0000000042C8: 0AAA0B55
	v_mul_f32_e32 v86, v86, v6                                 // 0000000042CC: 0AAC0D56
	v_mul_f32_e32 v87, v87, v7                                 // 0000000042D0: 0AAE0F57
	v_mul_f32_e32 v84, v84, v116                               // 0000000042D4: 0AA8E954
	v_mul_f32_e32 v85, v85, v117                               // 0000000042D8: 0AAAEB55
	v_mul_f32_e32 v86, v86, v118                               // 0000000042DC: 0AACED56
	v_mul_f32_e32 v87, v87, v119                               // 0000000042E0: 0AAEEF57
	s_branch label_073A                                        // 0000000042E4: BF820100

00000000000042e8 <label_063A>:
	v_mul_f32_e64 v4, -v56, s6                                 // 0000000042E8: D1050004 20000D38
	v_mul_f32_e64 v5, -v57, s6                                 // 0000000042F0: D1050005 20000D39
	v_mul_f32_e64 v6, -v58, s6                                 // 0000000042F8: D1050006 20000D3A
	v_mul_f32_e64 v7, -v59, s6                                 // 000000004300: D1050007 20000D3B
	v_exp_f32_e32 v4, v4                                       // 000000004308: 7E084104
	v_exp_f32_e32 v5, v5                                       // 00000000430C: 7E0A4105
	v_exp_f32_e32 v6, v6                                       // 000000004310: 7E0C4106
	v_exp_f32_e32 v7, v7                                       // 000000004314: 7E0E4107
	v_add_f32_e64 v4, v4, 1.0                                  // 000000004318: D1010004 0001E504
	v_add_f32_e64 v5, v5, 1.0                                  // 000000004320: D1010005 0001E505
	v_add_f32_e64 v6, v6, 1.0                                  // 000000004328: D1010006 0001E506
	v_add_f32_e64 v7, v7, 1.0                                  // 000000004330: D1010007 0001E507
	v_rcp_f32_e32 v4, v4                                       // 000000004338: 7E084504
	v_rcp_f32_e32 v5, v5                                       // 00000000433C: 7E0A4505
	v_rcp_f32_e32 v6, v6                                       // 000000004340: 7E0C4506
	v_rcp_f32_e32 v7, v7                                       // 000000004344: 7E0E4507
	v_mul_f32_e32 v56, v56, v4                                 // 000000004348: 0A700938
	v_mul_f32_e32 v57, v57, v5                                 // 00000000434C: 0A720B39
	v_mul_f32_e32 v58, v58, v6                                 // 000000004350: 0A740D3A
	v_mul_f32_e32 v59, v59, v7                                 // 000000004354: 0A760F3B
	v_mul_f32_e32 v56, v56, v88                                // 000000004358: 0A70B138
	v_mul_f32_e32 v57, v57, v89                                // 00000000435C: 0A72B339
	v_mul_f32_e32 v58, v58, v90                                // 000000004360: 0A74B53A
	v_mul_f32_e32 v59, v59, v91                                // 000000004364: 0A76B73B
	v_mul_f32_e64 v4, -v60, s6                                 // 000000004368: D1050004 20000D3C
	v_mul_f32_e64 v5, -v61, s6                                 // 000000004370: D1050005 20000D3D
	v_mul_f32_e64 v6, -v62, s6                                 // 000000004378: D1050006 20000D3E
	v_mul_f32_e64 v7, -v63, s6                                 // 000000004380: D1050007 20000D3F
	v_exp_f32_e32 v4, v4                                       // 000000004388: 7E084104
	v_exp_f32_e32 v5, v5                                       // 00000000438C: 7E0A4105
	v_exp_f32_e32 v6, v6                                       // 000000004390: 7E0C4106
	v_exp_f32_e32 v7, v7                                       // 000000004394: 7E0E4107
	v_add_f32_e64 v4, v4, 1.0                                  // 000000004398: D1010004 0001E504
	v_add_f32_e64 v5, v5, 1.0                                  // 0000000043A0: D1010005 0001E505
	v_add_f32_e64 v6, v6, 1.0                                  // 0000000043A8: D1010006 0001E506
	v_add_f32_e64 v7, v7, 1.0                                  // 0000000043B0: D1010007 0001E507
	v_rcp_f32_e32 v4, v4                                       // 0000000043B8: 7E084504
	v_rcp_f32_e32 v5, v5                                       // 0000000043BC: 7E0A4505
	v_rcp_f32_e32 v6, v6                                       // 0000000043C0: 7E0C4506
	v_rcp_f32_e32 v7, v7                                       // 0000000043C4: 7E0E4507
	v_mul_f32_e32 v60, v60, v4                                 // 0000000043C8: 0A78093C
	v_mul_f32_e32 v61, v61, v5                                 // 0000000043CC: 0A7A0B3D
	v_mul_f32_e32 v62, v62, v6                                 // 0000000043D0: 0A7C0D3E
	v_mul_f32_e32 v63, v63, v7                                 // 0000000043D4: 0A7E0F3F
	v_mul_f32_e32 v60, v60, v92                                // 0000000043D8: 0A78B93C
	v_mul_f32_e32 v61, v61, v93                                // 0000000043DC: 0A7ABB3D
	v_mul_f32_e32 v62, v62, v94                                // 0000000043E0: 0A7CBD3E
	v_mul_f32_e32 v63, v63, v95                                // 0000000043E4: 0A7EBF3F
	v_mul_f32_e64 v4, -v64, s6                                 // 0000000043E8: D1050004 20000D40
	v_mul_f32_e64 v5, -v65, s6                                 // 0000000043F0: D1050005 20000D41
	v_mul_f32_e64 v6, -v66, s6                                 // 0000000043F8: D1050006 20000D42
	v_mul_f32_e64 v7, -v67, s6                                 // 000000004400: D1050007 20000D43
	v_exp_f32_e32 v4, v4                                       // 000000004408: 7E084104
	v_exp_f32_e32 v5, v5                                       // 00000000440C: 7E0A4105
	v_exp_f32_e32 v6, v6                                       // 000000004410: 7E0C4106
	v_exp_f32_e32 v7, v7                                       // 000000004414: 7E0E4107
	v_add_f32_e64 v4, v4, 1.0                                  // 000000004418: D1010004 0001E504
	v_add_f32_e64 v5, v5, 1.0                                  // 000000004420: D1010005 0001E505
	v_add_f32_e64 v6, v6, 1.0                                  // 000000004428: D1010006 0001E506
	v_add_f32_e64 v7, v7, 1.0                                  // 000000004430: D1010007 0001E507
	v_rcp_f32_e32 v4, v4                                       // 000000004438: 7E084504
	v_rcp_f32_e32 v5, v5                                       // 00000000443C: 7E0A4505
	v_rcp_f32_e32 v6, v6                                       // 000000004440: 7E0C4506
	v_rcp_f32_e32 v7, v7                                       // 000000004444: 7E0E4507
	v_mul_f32_e32 v64, v64, v4                                 // 000000004448: 0A800940
	v_mul_f32_e32 v65, v65, v5                                 // 00000000444C: 0A820B41
	v_mul_f32_e32 v66, v66, v6                                 // 000000004450: 0A840D42
	v_mul_f32_e32 v67, v67, v7                                 // 000000004454: 0A860F43
	v_mul_f32_e32 v64, v64, v96                                // 000000004458: 0A80C140
	v_mul_f32_e32 v65, v65, v97                                // 00000000445C: 0A82C341
	v_mul_f32_e32 v66, v66, v98                                // 000000004460: 0A84C542
	v_mul_f32_e32 v67, v67, v99                                // 000000004464: 0A86C743
	v_mul_f32_e64 v4, -v68, s6                                 // 000000004468: D1050004 20000D44
	v_mul_f32_e64 v5, -v69, s6                                 // 000000004470: D1050005 20000D45
	v_mul_f32_e64 v6, -v70, s6                                 // 000000004478: D1050006 20000D46
	v_mul_f32_e64 v7, -v71, s6                                 // 000000004480: D1050007 20000D47
	v_exp_f32_e32 v4, v4                                       // 000000004488: 7E084104
	v_exp_f32_e32 v5, v5                                       // 00000000448C: 7E0A4105
	v_exp_f32_e32 v6, v6                                       // 000000004490: 7E0C4106
	v_exp_f32_e32 v7, v7                                       // 000000004494: 7E0E4107
	v_add_f32_e64 v4, v4, 1.0                                  // 000000004498: D1010004 0001E504
	v_add_f32_e64 v5, v5, 1.0                                  // 0000000044A0: D1010005 0001E505
	v_add_f32_e64 v6, v6, 1.0                                  // 0000000044A8: D1010006 0001E506
	v_add_f32_e64 v7, v7, 1.0                                  // 0000000044B0: D1010007 0001E507
	v_rcp_f32_e32 v4, v4                                       // 0000000044B8: 7E084504
	v_rcp_f32_e32 v5, v5                                       // 0000000044BC: 7E0A4505
	v_rcp_f32_e32 v6, v6                                       // 0000000044C0: 7E0C4506
	v_rcp_f32_e32 v7, v7                                       // 0000000044C4: 7E0E4507
	v_mul_f32_e32 v68, v68, v4                                 // 0000000044C8: 0A880944
	v_mul_f32_e32 v69, v69, v5                                 // 0000000044CC: 0A8A0B45
	v_mul_f32_e32 v70, v70, v6                                 // 0000000044D0: 0A8C0D46
	v_mul_f32_e32 v71, v71, v7                                 // 0000000044D4: 0A8E0F47
	v_mul_f32_e32 v68, v68, v100                               // 0000000044D8: 0A88C944
	v_mul_f32_e32 v69, v69, v101                               // 0000000044DC: 0A8ACB45
	v_mul_f32_e32 v70, v70, v102                               // 0000000044E0: 0A8CCD46
	v_mul_f32_e32 v71, v71, v103                               // 0000000044E4: 0A8ECF47
	v_mul_f32_e64 v4, -v72, s6                                 // 0000000044E8: D1050004 20000D48
	v_mul_f32_e64 v5, -v73, s6                                 // 0000000044F0: D1050005 20000D49
	v_mul_f32_e64 v6, -v74, s6                                 // 0000000044F8: D1050006 20000D4A
	v_mul_f32_e64 v7, -v75, s6                                 // 000000004500: D1050007 20000D4B
	v_exp_f32_e32 v4, v4                                       // 000000004508: 7E084104
	v_exp_f32_e32 v5, v5                                       // 00000000450C: 7E0A4105
	v_exp_f32_e32 v6, v6                                       // 000000004510: 7E0C4106
	v_exp_f32_e32 v7, v7                                       // 000000004514: 7E0E4107
	v_add_f32_e64 v4, v4, 1.0                                  // 000000004518: D1010004 0001E504
	v_add_f32_e64 v5, v5, 1.0                                  // 000000004520: D1010005 0001E505
	v_add_f32_e64 v6, v6, 1.0                                  // 000000004528: D1010006 0001E506
	v_add_f32_e64 v7, v7, 1.0                                  // 000000004530: D1010007 0001E507
	v_rcp_f32_e32 v4, v4                                       // 000000004538: 7E084504
	v_rcp_f32_e32 v5, v5                                       // 00000000453C: 7E0A4505
	v_rcp_f32_e32 v6, v6                                       // 000000004540: 7E0C4506
	v_rcp_f32_e32 v7, v7                                       // 000000004544: 7E0E4507
	v_mul_f32_e32 v72, v72, v4                                 // 000000004548: 0A900948
	v_mul_f32_e32 v73, v73, v5                                 // 00000000454C: 0A920B49
	v_mul_f32_e32 v74, v74, v6                                 // 000000004550: 0A940D4A
	v_mul_f32_e32 v75, v75, v7                                 // 000000004554: 0A960F4B
	v_mul_f32_e32 v72, v72, v104                               // 000000004558: 0A90D148
	v_mul_f32_e32 v73, v73, v105                               // 00000000455C: 0A92D349
	v_mul_f32_e32 v74, v74, v106                               // 000000004560: 0A94D54A
	v_mul_f32_e32 v75, v75, v107                               // 000000004564: 0A96D74B
	v_mul_f32_e64 v4, -v76, s6                                 // 000000004568: D1050004 20000D4C
	v_mul_f32_e64 v5, -v77, s6                                 // 000000004570: D1050005 20000D4D
	v_mul_f32_e64 v6, -v78, s6                                 // 000000004578: D1050006 20000D4E
	v_mul_f32_e64 v7, -v79, s6                                 // 000000004580: D1050007 20000D4F
	v_exp_f32_e32 v4, v4                                       // 000000004588: 7E084104
	v_exp_f32_e32 v5, v5                                       // 00000000458C: 7E0A4105
	v_exp_f32_e32 v6, v6                                       // 000000004590: 7E0C4106
	v_exp_f32_e32 v7, v7                                       // 000000004594: 7E0E4107
	v_add_f32_e64 v4, v4, 1.0                                  // 000000004598: D1010004 0001E504
	v_add_f32_e64 v5, v5, 1.0                                  // 0000000045A0: D1010005 0001E505
	v_add_f32_e64 v6, v6, 1.0                                  // 0000000045A8: D1010006 0001E506
	v_add_f32_e64 v7, v7, 1.0                                  // 0000000045B0: D1010007 0001E507
	v_rcp_f32_e32 v4, v4                                       // 0000000045B8: 7E084504
	v_rcp_f32_e32 v5, v5                                       // 0000000045BC: 7E0A4505
	v_rcp_f32_e32 v6, v6                                       // 0000000045C0: 7E0C4506
	v_rcp_f32_e32 v7, v7                                       // 0000000045C4: 7E0E4507
	v_mul_f32_e32 v76, v76, v4                                 // 0000000045C8: 0A98094C
	v_mul_f32_e32 v77, v77, v5                                 // 0000000045CC: 0A9A0B4D
	v_mul_f32_e32 v78, v78, v6                                 // 0000000045D0: 0A9C0D4E
	v_mul_f32_e32 v79, v79, v7                                 // 0000000045D4: 0A9E0F4F
	v_mul_f32_e32 v76, v76, v108                               // 0000000045D8: 0A98D94C
	v_mul_f32_e32 v77, v77, v109                               // 0000000045DC: 0A9ADB4D
	v_mul_f32_e32 v78, v78, v110                               // 0000000045E0: 0A9CDD4E
	v_mul_f32_e32 v79, v79, v111                               // 0000000045E4: 0A9EDF4F
	v_mul_f32_e64 v4, -v80, s6                                 // 0000000045E8: D1050004 20000D50
	v_mul_f32_e64 v5, -v81, s6                                 // 0000000045F0: D1050005 20000D51
	v_mul_f32_e64 v6, -v82, s6                                 // 0000000045F8: D1050006 20000D52
	v_mul_f32_e64 v7, -v83, s6                                 // 000000004600: D1050007 20000D53
	v_exp_f32_e32 v4, v4                                       // 000000004608: 7E084104
	v_exp_f32_e32 v5, v5                                       // 00000000460C: 7E0A4105
	v_exp_f32_e32 v6, v6                                       // 000000004610: 7E0C4106
	v_exp_f32_e32 v7, v7                                       // 000000004614: 7E0E4107
	v_add_f32_e64 v4, v4, 1.0                                  // 000000004618: D1010004 0001E504
	v_add_f32_e64 v5, v5, 1.0                                  // 000000004620: D1010005 0001E505
	v_add_f32_e64 v6, v6, 1.0                                  // 000000004628: D1010006 0001E506
	v_add_f32_e64 v7, v7, 1.0                                  // 000000004630: D1010007 0001E507
	v_rcp_f32_e32 v4, v4                                       // 000000004638: 7E084504
	v_rcp_f32_e32 v5, v5                                       // 00000000463C: 7E0A4505
	v_rcp_f32_e32 v6, v6                                       // 000000004640: 7E0C4506
	v_rcp_f32_e32 v7, v7                                       // 000000004644: 7E0E4507
	v_mul_f32_e32 v80, v80, v4                                 // 000000004648: 0AA00950
	v_mul_f32_e32 v81, v81, v5                                 // 00000000464C: 0AA20B51
	v_mul_f32_e32 v82, v82, v6                                 // 000000004650: 0AA40D52
	v_mul_f32_e32 v83, v83, v7                                 // 000000004654: 0AA60F53
	v_mul_f32_e32 v80, v80, v112                               // 000000004658: 0AA0E150
	v_mul_f32_e32 v81, v81, v113                               // 00000000465C: 0AA2E351
	v_mul_f32_e32 v82, v82, v114                               // 000000004660: 0AA4E552
	v_mul_f32_e32 v83, v83, v115                               // 000000004664: 0AA6E753
	v_mul_f32_e64 v4, -v84, s6                                 // 000000004668: D1050004 20000D54
	v_mul_f32_e64 v5, -v85, s6                                 // 000000004670: D1050005 20000D55
	v_mul_f32_e64 v6, -v86, s6                                 // 000000004678: D1050006 20000D56
	v_mul_f32_e64 v7, -v87, s6                                 // 000000004680: D1050007 20000D57
	v_exp_f32_e32 v4, v4                                       // 000000004688: 7E084104
	v_exp_f32_e32 v5, v5                                       // 00000000468C: 7E0A4105
	v_exp_f32_e32 v6, v6                                       // 000000004690: 7E0C4106
	v_exp_f32_e32 v7, v7                                       // 000000004694: 7E0E4107
	v_add_f32_e64 v4, v4, 1.0                                  // 000000004698: D1010004 0001E504
	v_add_f32_e64 v5, v5, 1.0                                  // 0000000046A0: D1010005 0001E505
	v_add_f32_e64 v6, v6, 1.0                                  // 0000000046A8: D1010006 0001E506
	v_add_f32_e64 v7, v7, 1.0                                  // 0000000046B0: D1010007 0001E507
	v_rcp_f32_e32 v4, v4                                       // 0000000046B8: 7E084504
	v_rcp_f32_e32 v5, v5                                       // 0000000046BC: 7E0A4505
	v_rcp_f32_e32 v6, v6                                       // 0000000046C0: 7E0C4506
	v_rcp_f32_e32 v7, v7                                       // 0000000046C4: 7E0E4507
	v_mul_f32_e32 v84, v84, v4                                 // 0000000046C8: 0AA80954
	v_mul_f32_e32 v85, v85, v5                                 // 0000000046CC: 0AAA0B55
	v_mul_f32_e32 v86, v86, v6                                 // 0000000046D0: 0AAC0D56
	v_mul_f32_e32 v87, v87, v7                                 // 0000000046D4: 0AAE0F57
	v_mul_f32_e32 v84, v84, v116                               // 0000000046D8: 0AA8E954
	v_mul_f32_e32 v85, v85, v117                               // 0000000046DC: 0AAAEB55
	v_mul_f32_e32 v86, v86, v118                               // 0000000046E0: 0AACED56
	v_mul_f32_e32 v87, v87, v119                               // 0000000046E4: 0AAEEF57

00000000000046e8 <label_073A>:
	v_cmp_u_f32_e64 s[46:47], v56, v56                         // 0000000046E8: D048002E 00027138
	v_add3_u32 v16, v56, v19, 1                                // 0000000046F0: D1FF0010 02062738
	v_cndmask_b32_e64 v4, v16, v18, s[46:47]                   // 0000000046F8: D1000004 00BA2510
	v_cmp_u_f32_e64 s[46:47], v57, v57                         // 000000004700: D048002E 00027339
	v_add3_u32 v16, v57, v19, 1                                // 000000004708: D1FF0010 02062739
	v_cndmask_b32_e64 v5, v16, v18, s[46:47]                   // 000000004710: D1000005 00BA2510
	v_perm_b32 v56, v5, v4, s52                                // 000000004718: D1ED0038 00D20905
	v_cmp_u_f32_e64 s[46:47], v58, v58                         // 000000004720: D048002E 0002753A
	v_add3_u32 v16, v58, v19, 1                                // 000000004728: D1FF0010 0206273A
	v_cndmask_b32_e64 v4, v16, v18, s[46:47]                   // 000000004730: D1000004 00BA2510
	v_cmp_u_f32_e64 s[46:47], v59, v59                         // 000000004738: D048002E 0002773B
	v_add3_u32 v16, v59, v19, 1                                // 000000004740: D1FF0010 0206273B
	v_cndmask_b32_e64 v5, v16, v18, s[46:47]                   // 000000004748: D1000005 00BA2510
	v_perm_b32 v57, v5, v4, s52                                // 000000004750: D1ED0039 00D20905
	v_cmp_u_f32_e64 s[46:47], v60, v60                         // 000000004758: D048002E 0002793C
	v_add3_u32 v16, v60, v19, 1                                // 000000004760: D1FF0010 0206273C
	v_cndmask_b32_e64 v4, v16, v18, s[46:47]                   // 000000004768: D1000004 00BA2510
	v_cmp_u_f32_e64 s[46:47], v61, v61                         // 000000004770: D048002E 00027B3D
	v_add3_u32 v16, v61, v19, 1                                // 000000004778: D1FF0010 0206273D
	v_cndmask_b32_e64 v5, v16, v18, s[46:47]                   // 000000004780: D1000005 00BA2510
	v_perm_b32 v58, v5, v4, s52                                // 000000004788: D1ED003A 00D20905
	v_cmp_u_f32_e64 s[46:47], v62, v62                         // 000000004790: D048002E 00027D3E
	v_add3_u32 v16, v62, v19, 1                                // 000000004798: D1FF0010 0206273E
	v_cndmask_b32_e64 v4, v16, v18, s[46:47]                   // 0000000047A0: D1000004 00BA2510
	v_cmp_u_f32_e64 s[46:47], v63, v63                         // 0000000047A8: D048002E 00027F3F
	v_add3_u32 v16, v63, v19, 1                                // 0000000047B0: D1FF0010 0206273F
	v_cndmask_b32_e64 v5, v16, v18, s[46:47]                   // 0000000047B8: D1000005 00BA2510
	v_perm_b32 v59, v5, v4, s52                                // 0000000047C0: D1ED003B 00D20905
	v_cmp_u_f32_e64 s[46:47], v64, v64                         // 0000000047C8: D048002E 00028140
	v_add3_u32 v16, v64, v19, 1                                // 0000000047D0: D1FF0010 02062740
	v_cndmask_b32_e64 v4, v16, v18, s[46:47]                   // 0000000047D8: D1000004 00BA2510
	v_cmp_u_f32_e64 s[46:47], v65, v65                         // 0000000047E0: D048002E 00028341
	v_add3_u32 v16, v65, v19, 1                                // 0000000047E8: D1FF0010 02062741
	v_cndmask_b32_e64 v5, v16, v18, s[46:47]                   // 0000000047F0: D1000005 00BA2510
	v_perm_b32 v60, v5, v4, s52                                // 0000000047F8: D1ED003C 00D20905
	v_cmp_u_f32_e64 s[46:47], v66, v66                         // 000000004800: D048002E 00028542
	v_add3_u32 v16, v66, v19, 1                                // 000000004808: D1FF0010 02062742
	v_cndmask_b32_e64 v4, v16, v18, s[46:47]                   // 000000004810: D1000004 00BA2510
	v_cmp_u_f32_e64 s[46:47], v67, v67                         // 000000004818: D048002E 00028743
	v_add3_u32 v16, v67, v19, 1                                // 000000004820: D1FF0010 02062743
	v_cndmask_b32_e64 v5, v16, v18, s[46:47]                   // 000000004828: D1000005 00BA2510
	v_perm_b32 v61, v5, v4, s52                                // 000000004830: D1ED003D 00D20905
	v_cmp_u_f32_e64 s[46:47], v68, v68                         // 000000004838: D048002E 00028944
	v_add3_u32 v16, v68, v19, 1                                // 000000004840: D1FF0010 02062744
	v_cndmask_b32_e64 v4, v16, v18, s[46:47]                   // 000000004848: D1000004 00BA2510
	v_cmp_u_f32_e64 s[46:47], v69, v69                         // 000000004850: D048002E 00028B45
	v_add3_u32 v16, v69, v19, 1                                // 000000004858: D1FF0010 02062745
	v_cndmask_b32_e64 v5, v16, v18, s[46:47]                   // 000000004860: D1000005 00BA2510
	v_perm_b32 v62, v5, v4, s52                                // 000000004868: D1ED003E 00D20905
	v_cmp_u_f32_e64 s[46:47], v70, v70                         // 000000004870: D048002E 00028D46
	v_add3_u32 v16, v70, v19, 1                                // 000000004878: D1FF0010 02062746
	v_cndmask_b32_e64 v4, v16, v18, s[46:47]                   // 000000004880: D1000004 00BA2510
	v_cmp_u_f32_e64 s[46:47], v71, v71                         // 000000004888: D048002E 00028F47
	v_add3_u32 v16, v71, v19, 1                                // 000000004890: D1FF0010 02062747
	v_cndmask_b32_e64 v5, v16, v18, s[46:47]                   // 000000004898: D1000005 00BA2510
	v_perm_b32 v63, v5, v4, s52                                // 0000000048A0: D1ED003F 00D20905
	v_cmp_u_f32_e64 s[46:47], v72, v72                         // 0000000048A8: D048002E 00029148
	v_add3_u32 v16, v72, v19, 1                                // 0000000048B0: D1FF0010 02062748
	v_cndmask_b32_e64 v4, v16, v18, s[46:47]                   // 0000000048B8: D1000004 00BA2510
	v_cmp_u_f32_e64 s[46:47], v73, v73                         // 0000000048C0: D048002E 00029349
	v_add3_u32 v16, v73, v19, 1                                // 0000000048C8: D1FF0010 02062749
	v_cndmask_b32_e64 v5, v16, v18, s[46:47]                   // 0000000048D0: D1000005 00BA2510
	v_perm_b32 v64, v5, v4, s52                                // 0000000048D8: D1ED0040 00D20905
	v_cmp_u_f32_e64 s[46:47], v74, v74                         // 0000000048E0: D048002E 0002954A
	v_add3_u32 v16, v74, v19, 1                                // 0000000048E8: D1FF0010 0206274A
	v_cndmask_b32_e64 v4, v16, v18, s[46:47]                   // 0000000048F0: D1000004 00BA2510
	v_cmp_u_f32_e64 s[46:47], v75, v75                         // 0000000048F8: D048002E 0002974B
	v_add3_u32 v16, v75, v19, 1                                // 000000004900: D1FF0010 0206274B
	v_cndmask_b32_e64 v5, v16, v18, s[46:47]                   // 000000004908: D1000005 00BA2510
	v_perm_b32 v65, v5, v4, s52                                // 000000004910: D1ED0041 00D20905
	v_cmp_u_f32_e64 s[46:47], v76, v76                         // 000000004918: D048002E 0002994C
	v_add3_u32 v16, v76, v19, 1                                // 000000004920: D1FF0010 0206274C
	v_cndmask_b32_e64 v4, v16, v18, s[46:47]                   // 000000004928: D1000004 00BA2510
	v_cmp_u_f32_e64 s[46:47], v77, v77                         // 000000004930: D048002E 00029B4D
	v_add3_u32 v16, v77, v19, 1                                // 000000004938: D1FF0010 0206274D
	v_cndmask_b32_e64 v5, v16, v18, s[46:47]                   // 000000004940: D1000005 00BA2510
	v_perm_b32 v66, v5, v4, s52                                // 000000004948: D1ED0042 00D20905
	v_cmp_u_f32_e64 s[46:47], v78, v78                         // 000000004950: D048002E 00029D4E
	v_add3_u32 v16, v78, v19, 1                                // 000000004958: D1FF0010 0206274E
	v_cndmask_b32_e64 v4, v16, v18, s[46:47]                   // 000000004960: D1000004 00BA2510
	v_cmp_u_f32_e64 s[46:47], v79, v79                         // 000000004968: D048002E 00029F4F
	v_add3_u32 v16, v79, v19, 1                                // 000000004970: D1FF0010 0206274F
	v_cndmask_b32_e64 v5, v16, v18, s[46:47]                   // 000000004978: D1000005 00BA2510
	v_perm_b32 v67, v5, v4, s52                                // 000000004980: D1ED0043 00D20905
	v_cmp_u_f32_e64 s[46:47], v80, v80                         // 000000004988: D048002E 0002A150
	v_add3_u32 v16, v80, v19, 1                                // 000000004990: D1FF0010 02062750
	v_cndmask_b32_e64 v4, v16, v18, s[46:47]                   // 000000004998: D1000004 00BA2510
	v_cmp_u_f32_e64 s[46:47], v81, v81                         // 0000000049A0: D048002E 0002A351
	v_add3_u32 v16, v81, v19, 1                                // 0000000049A8: D1FF0010 02062751
	v_cndmask_b32_e64 v5, v16, v18, s[46:47]                   // 0000000049B0: D1000005 00BA2510
	v_perm_b32 v68, v5, v4, s52                                // 0000000049B8: D1ED0044 00D20905
	v_cmp_u_f32_e64 s[46:47], v82, v82                         // 0000000049C0: D048002E 0002A552
	v_add3_u32 v16, v82, v19, 1                                // 0000000049C8: D1FF0010 02062752
	v_cndmask_b32_e64 v4, v16, v18, s[46:47]                   // 0000000049D0: D1000004 00BA2510
	v_cmp_u_f32_e64 s[46:47], v83, v83                         // 0000000049D8: D048002E 0002A753
	v_add3_u32 v16, v83, v19, 1                                // 0000000049E0: D1FF0010 02062753
	v_cndmask_b32_e64 v5, v16, v18, s[46:47]                   // 0000000049E8: D1000005 00BA2510
	v_perm_b32 v69, v5, v4, s52                                // 0000000049F0: D1ED0045 00D20905
	v_cmp_u_f32_e64 s[46:47], v84, v84                         // 0000000049F8: D048002E 0002A954
	v_add3_u32 v16, v84, v19, 1                                // 000000004A00: D1FF0010 02062754
	v_cndmask_b32_e64 v4, v16, v18, s[46:47]                   // 000000004A08: D1000004 00BA2510
	v_cmp_u_f32_e64 s[46:47], v85, v85                         // 000000004A10: D048002E 0002AB55
	v_add3_u32 v16, v85, v19, 1                                // 000000004A18: D1FF0010 02062755
	v_cndmask_b32_e64 v5, v16, v18, s[46:47]                   // 000000004A20: D1000005 00BA2510
	v_perm_b32 v70, v5, v4, s52                                // 000000004A28: D1ED0046 00D20905
	v_cmp_u_f32_e64 s[46:47], v86, v86                         // 000000004A30: D048002E 0002AD56
	v_add3_u32 v16, v86, v19, 1                                // 000000004A38: D1FF0010 02062756
	v_cndmask_b32_e64 v4, v16, v18, s[46:47]                   // 000000004A40: D1000004 00BA2510
	v_cmp_u_f32_e64 s[46:47], v87, v87                         // 000000004A48: D048002E 0002AF57
	v_add3_u32 v16, v87, v19, 1                                // 000000004A50: D1FF0010 02062757
	v_cndmask_b32_e64 v5, v16, v18, s[46:47]                   // 000000004A58: D1000005 00BA2510
	v_perm_b32 v71, v5, v4, s52                                // 000000004A60: D1ED0047 00D20905
	ds_write_b64 v20, v[56:57]                                 // 000000004A68: D89A0000 00003814
	ds_write_b64 v20, v[58:59] offset:4352                     // 000000004A70: D89A1100 00003A14
	ds_write_b64 v20, v[60:61] offset:8704                     // 000000004A78: D89A2200 00003C14
	ds_write_b64 v20, v[62:63] offset:13056                    // 000000004A80: D89A3300 00003E14
	ds_write_b64 v20, v[64:65] offset:2176                     // 000000004A88: D89A0880 00004014
	ds_write_b64 v20, v[66:67] offset:6528                     // 000000004A90: D89A1980 00004214
	ds_write_b64 v20, v[68:69] offset:10880                    // 000000004A98: D89A2A80 00004414
	ds_write_b64 v20, v[70:71] offset:15232                    // 000000004AA0: D89A3B80 00004614
	v_lshrrev_b32_e32 v4, 5, v0                                // 000000004AA8: 20080085
	v_xor_b32_e32 v5, 1, v4                                    // 000000004AAC: 2A0A0881
	s_mul_i32 s60, s65, 2                                      // 000000004AB0: 923C8241
	s_cmp_eq_u32 s88, 0                                        // 000000004AB4: BF068058
	s_cselect_b32 s61, 1, 4                                    // 000000004AB8: 853D8481
	s_mul_i32 s60, s61, s60                                    // 000000004ABC: 923C3C3D
	v_readlane_b32 s82, v3, 0                                  // 000000004AC0: D2890052 00010103
	s_lshr_b32 s61, s82, 24                                    // 000000004AC8: 8F3D9852
	s_and_b32 s82, s82, 0xffffff                               // 000000004ACC: 8652FF52 00FFFFFF
	s_mul_i32 s82, s82, s71                                    // 000000004AD4: 92524752
	s_mul_i32 s61, s60, s61                                    // 000000004AD8: 923D3D3C
	s_add_u32 s82, s82, s61                                    // 000000004ADC: 80523D52
	v_mul_lo_u32 v6, v5, s82                                   // 000000004AE0: D2850006 0000A505
	v_readlane_b32 s82, v3, 1                                  // 000000004AE8: D2890052 00010303
	s_lshr_b32 s61, s82, 24                                    // 000000004AF0: 8F3D9852
	s_and_b32 s82, s82, 0xffffff                               // 000000004AF4: 8652FF52 00FFFFFF
	s_mul_i32 s82, s82, s71                                    // 000000004AFC: 92524752
	s_mul_i32 s61, s60, s61                                    // 000000004B00: 923D3D3C
	s_add_u32 s82, s82, s61                                    // 000000004B04: 80523D52
	v_mul_lo_u32 v7, v4, s82                                   // 000000004B08: D2850007 0000A504
	v_add_u32_e32 v44, v6, v7                                  // 000000004B10: 68580F06
	v_readlane_b32 s82, v3, 2                                  // 000000004B14: D2890052 00010503
	s_lshr_b32 s61, s82, 24                                    // 000000004B1C: 8F3D9852
	s_and_b32 s82, s82, 0xffffff                               // 000000004B20: 8652FF52 00FFFFFF
	s_mul_i32 s82, s82, s71                                    // 000000004B28: 92524752
	s_mul_i32 s61, s60, s61                                    // 000000004B2C: 923D3D3C
	s_add_u32 s82, s82, s61                                    // 000000004B30: 80523D52
	v_mul_lo_u32 v6, v5, s82                                   // 000000004B34: D2850006 0000A505
	v_readlane_b32 s82, v3, 3                                  // 000000004B3C: D2890052 00010703
	s_lshr_b32 s61, s82, 24                                    // 000000004B44: 8F3D9852
	s_and_b32 s82, s82, 0xffffff                               // 000000004B48: 8652FF52 00FFFFFF
	s_mul_i32 s82, s82, s71                                    // 000000004B50: 92524752
	s_mul_i32 s61, s60, s61                                    // 000000004B54: 923D3D3C
	s_add_u32 s82, s82, s61                                    // 000000004B58: 80523D52
	v_mul_lo_u32 v7, v4, s82                                   // 000000004B5C: D2850007 0000A504
	v_add_u32_e32 v45, v6, v7                                  // 000000004B64: 685A0F06
	v_readlane_b32 s82, v3, 4                                  // 000000004B68: D2890052 00010903
	s_lshr_b32 s61, s82, 24                                    // 000000004B70: 8F3D9852
	s_and_b32 s82, s82, 0xffffff                               // 000000004B74: 8652FF52 00FFFFFF
	s_mul_i32 s82, s82, s71                                    // 000000004B7C: 92524752
	s_mul_i32 s61, s60, s61                                    // 000000004B80: 923D3D3C
	s_add_u32 s82, s82, s61                                    // 000000004B84: 80523D52
	v_mul_lo_u32 v6, v5, s82                                   // 000000004B88: D2850006 0000A505
	v_readlane_b32 s82, v3, 5                                  // 000000004B90: D2890052 00010B03
	s_lshr_b32 s61, s82, 24                                    // 000000004B98: 8F3D9852
	s_and_b32 s82, s82, 0xffffff                               // 000000004B9C: 8652FF52 00FFFFFF
	s_mul_i32 s82, s82, s71                                    // 000000004BA4: 92524752
	s_mul_i32 s61, s60, s61                                    // 000000004BA8: 923D3D3C
	s_add_u32 s82, s82, s61                                    // 000000004BAC: 80523D52
	v_mul_lo_u32 v7, v4, s82                                   // 000000004BB0: D2850007 0000A504
	v_add_u32_e32 v46, v6, v7                                  // 000000004BB8: 685C0F06
	v_readlane_b32 s82, v3, 6                                  // 000000004BBC: D2890052 00010D03
	s_lshr_b32 s61, s82, 24                                    // 000000004BC4: 8F3D9852
	s_and_b32 s82, s82, 0xffffff                               // 000000004BC8: 8652FF52 00FFFFFF
	s_mul_i32 s82, s82, s71                                    // 000000004BD0: 92524752
	s_mul_i32 s61, s60, s61                                    // 000000004BD4: 923D3D3C
	s_add_u32 s82, s82, s61                                    // 000000004BD8: 80523D52
	v_mul_lo_u32 v6, v5, s82                                   // 000000004BDC: D2850006 0000A505
	v_readlane_b32 s82, v3, 7                                  // 000000004BE4: D2890052 00010F03
	s_lshr_b32 s61, s82, 24                                    // 000000004BEC: 8F3D9852
	s_and_b32 s82, s82, 0xffffff                               // 000000004BF0: 8652FF52 00FFFFFF
	s_mul_i32 s82, s82, s71                                    // 000000004BF8: 92524752
	s_mul_i32 s61, s60, s61                                    // 000000004BFC: 923D3D3C
	s_add_u32 s82, s82, s61                                    // 000000004C00: 80523D52
	v_mul_lo_u32 v7, v4, s82                                   // 000000004C04: D2850007 0000A504
	v_add_u32_e32 v47, v6, v7                                  // 000000004C0C: 685E0F06
	v_readlane_b32 s82, v3, 8                                  // 000000004C10: D2890052 00011103
	s_lshr_b32 s61, s82, 24                                    // 000000004C18: 8F3D9852
	s_and_b32 s82, s82, 0xffffff                               // 000000004C1C: 8652FF52 00FFFFFF
	s_mul_i32 s82, s82, s71                                    // 000000004C24: 92524752
	s_mul_i32 s61, s60, s61                                    // 000000004C28: 923D3D3C
	s_add_u32 s82, s82, s61                                    // 000000004C2C: 80523D52
	v_mul_lo_u32 v6, v5, s82                                   // 000000004C30: D2850006 0000A505
	v_readlane_b32 s82, v3, 9                                  // 000000004C38: D2890052 00011303
	s_lshr_b32 s61, s82, 24                                    // 000000004C40: 8F3D9852
	s_and_b32 s82, s82, 0xffffff                               // 000000004C44: 8652FF52 00FFFFFF
	s_mul_i32 s82, s82, s71                                    // 000000004C4C: 92524752
	s_mul_i32 s61, s60, s61                                    // 000000004C50: 923D3D3C
	s_add_u32 s82, s82, s61                                    // 000000004C54: 80523D52
	v_mul_lo_u32 v7, v4, s82                                   // 000000004C58: D2850007 0000A504
	v_add_u32_e32 v48, v6, v7                                  // 000000004C60: 68600F06
	v_readlane_b32 s82, v3, 10                                 // 000000004C64: D2890052 00011503
	s_lshr_b32 s61, s82, 24                                    // 000000004C6C: 8F3D9852
	s_and_b32 s82, s82, 0xffffff                               // 000000004C70: 8652FF52 00FFFFFF
	s_mul_i32 s82, s82, s71                                    // 000000004C78: 92524752
	s_mul_i32 s61, s60, s61                                    // 000000004C7C: 923D3D3C
	s_add_u32 s82, s82, s61                                    // 000000004C80: 80523D52
	v_mul_lo_u32 v6, v5, s82                                   // 000000004C84: D2850006 0000A505
	v_readlane_b32 s82, v3, 11                                 // 000000004C8C: D2890052 00011703
	s_lshr_b32 s61, s82, 24                                    // 000000004C94: 8F3D9852
	s_and_b32 s82, s82, 0xffffff                               // 000000004C98: 8652FF52 00FFFFFF
	s_mul_i32 s82, s82, s71                                    // 000000004CA0: 92524752
	s_mul_i32 s61, s60, s61                                    // 000000004CA4: 923D3D3C
	s_add_u32 s82, s82, s61                                    // 000000004CA8: 80523D52
	v_mul_lo_u32 v7, v4, s82                                   // 000000004CAC: D2850007 0000A504
	v_add_u32_e32 v49, v6, v7                                  // 000000004CB4: 68620F06
	v_readlane_b32 s82, v3, 12                                 // 000000004CB8: D2890052 00011903
	s_lshr_b32 s61, s82, 24                                    // 000000004CC0: 8F3D9852
	s_and_b32 s82, s82, 0xffffff                               // 000000004CC4: 8652FF52 00FFFFFF
	s_mul_i32 s82, s82, s71                                    // 000000004CCC: 92524752
	s_mul_i32 s61, s60, s61                                    // 000000004CD0: 923D3D3C
	s_add_u32 s82, s82, s61                                    // 000000004CD4: 80523D52
	v_mul_lo_u32 v6, v5, s82                                   // 000000004CD8: D2850006 0000A505
	v_readlane_b32 s82, v3, 13                                 // 000000004CE0: D2890052 00011B03
	s_lshr_b32 s61, s82, 24                                    // 000000004CE8: 8F3D9852
	s_and_b32 s82, s82, 0xffffff                               // 000000004CEC: 8652FF52 00FFFFFF
	s_mul_i32 s82, s82, s71                                    // 000000004CF4: 92524752
	s_mul_i32 s61, s60, s61                                    // 000000004CF8: 923D3D3C
	s_add_u32 s82, s82, s61                                    // 000000004CFC: 80523D52
	v_mul_lo_u32 v7, v4, s82                                   // 000000004D00: D2850007 0000A504
	v_add_u32_e32 v50, v6, v7                                  // 000000004D08: 68640F06
	v_readlane_b32 s82, v3, 14                                 // 000000004D0C: D2890052 00011D03
	s_lshr_b32 s61, s82, 24                                    // 000000004D14: 8F3D9852
	s_and_b32 s82, s82, 0xffffff                               // 000000004D18: 8652FF52 00FFFFFF
	s_mul_i32 s82, s82, s71                                    // 000000004D20: 92524752
	s_mul_i32 s61, s60, s61                                    // 000000004D24: 923D3D3C
	s_add_u32 s82, s82, s61                                    // 000000004D28: 80523D52
	v_mul_lo_u32 v6, v5, s82                                   // 000000004D2C: D2850006 0000A505
	v_readlane_b32 s82, v3, 15                                 // 000000004D34: D2890052 00011F03
	s_lshr_b32 s61, s82, 24                                    // 000000004D3C: 8F3D9852
	s_and_b32 s82, s82, 0xffffff                               // 000000004D40: 8652FF52 00FFFFFF
	s_mul_i32 s82, s82, s71                                    // 000000004D48: 92524752
	s_mul_i32 s61, s60, s61                                    // 000000004D4C: 923D3D3C
	s_add_u32 s82, s82, s61                                    // 000000004D50: 80523D52
	v_mul_lo_u32 v7, v4, s82                                   // 000000004D54: D2850007 0000A504
	v_add_u32_e32 v51, v6, v7                                  // 000000004D5C: 68660F06
	v_and_b32_e32 v4, 31, v0                                   // 000000004D60: 2608009F
	v_lshrrev_b32_e32 v4, 1, v4                                // 000000004D64: 20080881
	s_cmp_eq_u32 s88, 0                                        // 000000004D68: BF068058
	s_cselect_b32 s61, 2, 4                                    // 000000004D6C: 853D8482
	v_mul_lo_u32 v4, v4, s61                                   // 000000004D70: D2850004 00007B04
	v_and_b32_e64 v5, v0, 1                                    // 000000004D78: D1130005 00010300
	v_add_u32_e32 v4, v4, v5                                   // 000000004D80: 68080B04
	v_lshlrev_b32_e32 v4, 2, v4                                // 000000004D84: 24080882
	v_add_u32_e32 v44, v44, v4                                 // 000000004D88: 6858092C
	v_add_u32_e32 v45, v45, v4                                 // 000000004D8C: 685A092D
	v_add_u32_e32 v46, v46, v4                                 // 000000004D90: 685C092E
	v_add_u32_e32 v47, v47, v4                                 // 000000004D94: 685E092F
	v_add_u32_e32 v48, v48, v4                                 // 000000004D98: 68600930
	v_add_u32_e32 v49, v49, v4                                 // 000000004D9C: 68620931
	v_add_u32_e32 v50, v50, v4                                 // 000000004DA0: 68640932
	v_add_u32_e32 v51, v51, v4                                 // 000000004DA4: 68660933
	s_waitcnt lgkmcnt(0)                                       // 000000004DA8: BF8CC07F
	s_barrier                                                  // 000000004DAC: BF8A0000
	ds_read_b32 v56, v21                                       // 000000004DB0: D86C0000 38000015
	ds_read_b32 v57, v21 offset:64                             // 000000004DB8: D86C0040 39000015
	ds_read_b32 v58, v21 offset:2176                           // 000000004DC0: D86C0880 3A000015
	ds_read_b32 v59, v21 offset:2240                           // 000000004DC8: D86C08C0 3B000015
	ds_read_b32 v60, v21 offset:4352                           // 000000004DD0: D86C1100 3C000015
	ds_read_b32 v61, v21 offset:4416                           // 000000004DD8: D86C1140 3D000015
	ds_read_b32 v62, v21 offset:6528                           // 000000004DE0: D86C1980 3E000015
	ds_read_b32 v63, v21 offset:6592                           // 000000004DE8: D86C19C0 3F000015
	ds_read_b32 v64, v21 offset:8704                           // 000000004DF0: D86C2200 40000015
	ds_read_b32 v65, v21 offset:8768                           // 000000004DF8: D86C2240 41000015
	ds_read_b32 v66, v21 offset:10880                          // 000000004E00: D86C2A80 42000015
	ds_read_b32 v67, v21 offset:10944                          // 000000004E08: D86C2AC0 43000015
	ds_read_b32 v68, v21 offset:13056                          // 000000004E10: D86C3300 44000015
	ds_read_b32 v69, v21 offset:13120                          // 000000004E18: D86C3340 45000015
	ds_read_b32 v70, v21 offset:15232                          // 000000004E20: D86C3B80 46000015
	ds_read_b32 v71, v21 offset:15296                          // 000000004E28: D86C3BC0 47000015
	s_waitcnt lgkmcnt(0)                                       // 000000004E30: BF8CC07F
	s_mov_b32 s36, -1                                          // 000000004E34: BEA400C1
	s_mov_b32 s37, -1                                          // 000000004E38: BEA500C1
	v_mov_b32_e32 v7, 0                                        // 000000004E3C: 7E0E0280
	s_or_b32 s9, s9, 0x40000                                   // 000000004E40: 8709FF09 00040000
	s_mov_b64 exec, s[36:37]                                   // 000000004E48: BEFE0124
	v_mov_b32_e32 v6, v44                                      // 000000004E4C: 7E0C032C
	s_mov_b64 s[60:61], 0                                      // 000000004E50: BEBC0180
	v_readlane_b32 s82, v3, 0                                  // 000000004E54: D2890052 00010103
	s_and_b32 s82, s82, 0xffffff                               // 000000004E5C: 8652FF52 00FFFFFF
	s_cmp_lt_u32 s82, s66                                      // 000000004E64: BF0A4252
	s_cselect_b32 s20, s36, s60                                // 000000004E68: 85143C24
	v_readlane_b32 s82, v3, 1                                  // 000000004E6C: D2890052 00010303
	s_and_b32 s82, s82, 0xffffff                               // 000000004E74: 8652FF52 00FFFFFF
	s_cmp_lt_u32 s82, s66                                      // 000000004E7C: BF0A4252
	s_cselect_b32 s21, s36, s60                                // 000000004E80: 85153C24
	s_mov_b64 exec, s[20:21]                                   // 000000004E84: BEFE0114
	buffer_store_dword v56, v6, s[8:11], 0 offen               // 000000004E88: E0701000 80023806
	buffer_store_dword v58, v6, s[8:11], 0 offen offset:128    // 000000004E90: E0701080 80023A06
	s_mov_b64 exec, s[36:37]                                   // 000000004E98: BEFE0124
	v_mov_b32_e32 v6, v45                                      // 000000004E9C: 7E0C032D
	s_mov_b64 s[60:61], 0                                      // 000000004EA0: BEBC0180
	v_readlane_b32 s82, v3, 2                                  // 000000004EA4: D2890052 00010503
	s_and_b32 s82, s82, 0xffffff                               // 000000004EAC: 8652FF52 00FFFFFF
	s_cmp_lt_u32 s82, s66                                      // 000000004EB4: BF0A4252
	s_cselect_b32 s20, s36, s60                                // 000000004EB8: 85143C24
	v_readlane_b32 s82, v3, 3                                  // 000000004EBC: D2890052 00010703
	s_and_b32 s82, s82, 0xffffff                               // 000000004EC4: 8652FF52 00FFFFFF
	s_cmp_lt_u32 s82, s66                                      // 000000004ECC: BF0A4252
	s_cselect_b32 s21, s36, s60                                // 000000004ED0: 85153C24
	s_mov_b64 exec, s[20:21]                                   // 000000004ED4: BEFE0114
	buffer_store_dword v57, v6, s[8:11], 0 offen               // 000000004ED8: E0701000 80023906
	buffer_store_dword v59, v6, s[8:11], 0 offen offset:128    // 000000004EE0: E0701080 80023B06
	s_mov_b64 exec, s[36:37]                                   // 000000004EE8: BEFE0124
	v_mov_b32_e32 v6, v46                                      // 000000004EEC: 7E0C032E
	s_mov_b64 s[60:61], 0                                      // 000000004EF0: BEBC0180
	v_readlane_b32 s82, v3, 4                                  // 000000004EF4: D2890052 00010903
	s_and_b32 s82, s82, 0xffffff                               // 000000004EFC: 8652FF52 00FFFFFF
	s_cmp_lt_u32 s82, s66                                      // 000000004F04: BF0A4252
	s_cselect_b32 s20, s36, s60                                // 000000004F08: 85143C24
	v_readlane_b32 s82, v3, 5                                  // 000000004F0C: D2890052 00010B03
	s_and_b32 s82, s82, 0xffffff                               // 000000004F14: 8652FF52 00FFFFFF
	s_cmp_lt_u32 s82, s66                                      // 000000004F1C: BF0A4252
	s_cselect_b32 s21, s36, s60                                // 000000004F20: 85153C24
	s_mov_b64 exec, s[20:21]                                   // 000000004F24: BEFE0114
	buffer_store_dword v60, v6, s[8:11], 0 offen               // 000000004F28: E0701000 80023C06
	buffer_store_dword v62, v6, s[8:11], 0 offen offset:128    // 000000004F30: E0701080 80023E06
	s_mov_b64 exec, s[36:37]                                   // 000000004F38: BEFE0124
	v_mov_b32_e32 v6, v47                                      // 000000004F3C: 7E0C032F
	s_mov_b64 s[60:61], 0                                      // 000000004F40: BEBC0180
	v_readlane_b32 s82, v3, 6                                  // 000000004F44: D2890052 00010D03
	s_and_b32 s82, s82, 0xffffff                               // 000000004F4C: 8652FF52 00FFFFFF
	s_cmp_lt_u32 s82, s66                                      // 000000004F54: BF0A4252
	s_cselect_b32 s20, s36, s60                                // 000000004F58: 85143C24
	v_readlane_b32 s82, v3, 7                                  // 000000004F5C: D2890052 00010F03
	s_and_b32 s82, s82, 0xffffff                               // 000000004F64: 8652FF52 00FFFFFF
	s_cmp_lt_u32 s82, s66                                      // 000000004F6C: BF0A4252
	s_cselect_b32 s21, s36, s60                                // 000000004F70: 85153C24
	s_mov_b64 exec, s[20:21]                                   // 000000004F74: BEFE0114
	buffer_store_dword v61, v6, s[8:11], 0 offen               // 000000004F78: E0701000 80023D06
	buffer_store_dword v63, v6, s[8:11], 0 offen offset:128    // 000000004F80: E0701080 80023F06
	s_mov_b64 exec, s[36:37]                                   // 000000004F88: BEFE0124
	v_mov_b32_e32 v6, v48                                      // 000000004F8C: 7E0C0330
	s_mov_b64 s[60:61], 0                                      // 000000004F90: BEBC0180
	v_readlane_b32 s82, v3, 8                                  // 000000004F94: D2890052 00011103
	s_and_b32 s82, s82, 0xffffff                               // 000000004F9C: 8652FF52 00FFFFFF
	s_cmp_lt_u32 s82, s66                                      // 000000004FA4: BF0A4252
	s_cselect_b32 s20, s36, s60                                // 000000004FA8: 85143C24
	v_readlane_b32 s82, v3, 9                                  // 000000004FAC: D2890052 00011303
	s_and_b32 s82, s82, 0xffffff                               // 000000004FB4: 8652FF52 00FFFFFF
	s_cmp_lt_u32 s82, s66                                      // 000000004FBC: BF0A4252
	s_cselect_b32 s21, s36, s60                                // 000000004FC0: 85153C24
	s_mov_b64 exec, s[20:21]                                   // 000000004FC4: BEFE0114
	buffer_store_dword v64, v6, s[8:11], 0 offen               // 000000004FC8: E0701000 80024006
	buffer_store_dword v66, v6, s[8:11], 0 offen offset:128    // 000000004FD0: E0701080 80024206
	s_mov_b64 exec, s[36:37]                                   // 000000004FD8: BEFE0124
	v_mov_b32_e32 v6, v49                                      // 000000004FDC: 7E0C0331
	s_mov_b64 s[60:61], 0                                      // 000000004FE0: BEBC0180
	v_readlane_b32 s82, v3, 10                                 // 000000004FE4: D2890052 00011503
	s_and_b32 s82, s82, 0xffffff                               // 000000004FEC: 8652FF52 00FFFFFF
	s_cmp_lt_u32 s82, s66                                      // 000000004FF4: BF0A4252
	s_cselect_b32 s20, s36, s60                                // 000000004FF8: 85143C24
	v_readlane_b32 s82, v3, 11                                 // 000000004FFC: D2890052 00011703
	s_and_b32 s82, s82, 0xffffff                               // 000000005004: 8652FF52 00FFFFFF
	s_cmp_lt_u32 s82, s66                                      // 00000000500C: BF0A4252
	s_cselect_b32 s21, s36, s60                                // 000000005010: 85153C24
	s_mov_b64 exec, s[20:21]                                   // 000000005014: BEFE0114
	buffer_store_dword v65, v6, s[8:11], 0 offen               // 000000005018: E0701000 80024106
	buffer_store_dword v67, v6, s[8:11], 0 offen offset:128    // 000000005020: E0701080 80024306
	s_mov_b64 exec, s[36:37]                                   // 000000005028: BEFE0124
	v_mov_b32_e32 v6, v50                                      // 00000000502C: 7E0C0332
	s_mov_b64 s[60:61], 0                                      // 000000005030: BEBC0180
	v_readlane_b32 s82, v3, 12                                 // 000000005034: D2890052 00011903
	s_and_b32 s82, s82, 0xffffff                               // 00000000503C: 8652FF52 00FFFFFF
	s_cmp_lt_u32 s82, s66                                      // 000000005044: BF0A4252
	s_cselect_b32 s20, s36, s60                                // 000000005048: 85143C24
	v_readlane_b32 s82, v3, 13                                 // 00000000504C: D2890052 00011B03
	s_and_b32 s82, s82, 0xffffff                               // 000000005054: 8652FF52 00FFFFFF
	s_cmp_lt_u32 s82, s66                                      // 00000000505C: BF0A4252
	s_cselect_b32 s21, s36, s60                                // 000000005060: 85153C24
	s_mov_b64 exec, s[20:21]                                   // 000000005064: BEFE0114
	buffer_store_dword v68, v6, s[8:11], 0 offen               // 000000005068: E0701000 80024406
	buffer_store_dword v70, v6, s[8:11], 0 offen offset:128    // 000000005070: E0701080 80024606
	s_mov_b64 exec, s[36:37]                                   // 000000005078: BEFE0124
	v_mov_b32_e32 v6, v51                                      // 00000000507C: 7E0C0333
	s_mov_b64 s[60:61], 0                                      // 000000005080: BEBC0180
	v_readlane_b32 s82, v3, 14                                 // 000000005084: D2890052 00011D03
	s_and_b32 s82, s82, 0xffffff                               // 00000000508C: 8652FF52 00FFFFFF
	s_cmp_lt_u32 s82, s66                                      // 000000005094: BF0A4252
	s_cselect_b32 s20, s36, s60                                // 000000005098: 85143C24
	v_readlane_b32 s82, v3, 15                                 // 00000000509C: D2890052 00011F03
	s_and_b32 s82, s82, 0xffffff                               // 0000000050A4: 8652FF52 00FFFFFF
	s_cmp_lt_u32 s82, s66                                      // 0000000050AC: BF0A4252
	s_cselect_b32 s21, s36, s60                                // 0000000050B0: 85153C24
	s_mov_b64 exec, s[20:21]                                   // 0000000050B4: BEFE0114
	buffer_store_dword v69, v6, s[8:11], 0 offen               // 0000000050B8: E0701000 80024506
	buffer_store_dword v71, v6, s[8:11], 0 offen offset:128    // 0000000050C0: E0701080 80024706
	s_mov_b64 exec, s[36:37]                                   // 0000000050C8: BEFE0124
	s_branch label_192B                                        // 0000000050CC: BF820F74

00000000000050d0 <label_09B4>:
	ds_write_b64 v20, v[56:57]                                 // 0000000050D0: D89A0000 00003814
	ds_write_b64 v20, v[60:61] offset:4352                     // 0000000050D8: D89A1100 00003C14
	ds_write_b64 v20, v[64:65] offset:8704                     // 0000000050E0: D89A2200 00004014
	ds_write_b64 v20, v[68:69] offset:13056                    // 0000000050E8: D89A3300 00004414
	ds_write_b64 v20, v[72:73] offset:2176                     // 0000000050F0: D89A0880 00004814
	ds_write_b64 v20, v[76:77] offset:6528                     // 0000000050F8: D89A1980 00004C14
	ds_write_b64 v20, v[80:81] offset:10880                    // 000000005100: D89A2A80 00005014
	ds_write_b64 v20, v[84:85] offset:15232                    // 000000005108: D89A3B80 00005414
	v_lshrrev_b32_e32 v4, 5, v0                                // 000000005110: 20080085
	v_xor_b32_e32 v5, 1, v4                                    // 000000005114: 2A0A0881
	s_mul_i32 s60, s65, 2                                      // 000000005118: 923C8241
	s_cmp_eq_u32 s88, 0                                        // 00000000511C: BF068058
	s_cselect_b32 s61, 1, 4                                    // 000000005120: 853D8481
	s_mul_i32 s60, s61, s60                                    // 000000005124: 923C3C3D
	v_readlane_b32 s82, v3, 0                                  // 000000005128: D2890052 00010103
	s_lshr_b32 s61, s82, 24                                    // 000000005130: 8F3D9852
	s_and_b32 s82, s82, 0xffffff                               // 000000005134: 8652FF52 00FFFFFF
	s_mul_i32 s82, s82, s71                                    // 00000000513C: 92524752
	s_mul_i32 s61, s60, s61                                    // 000000005140: 923D3D3C
	s_add_u32 s82, s82, s61                                    // 000000005144: 80523D52
	v_mul_lo_u32 v6, v5, s82                                   // 000000005148: D2850006 0000A505
	v_readlane_b32 s82, v3, 1                                  // 000000005150: D2890052 00010303
	s_lshr_b32 s61, s82, 24                                    // 000000005158: 8F3D9852
	s_and_b32 s82, s82, 0xffffff                               // 00000000515C: 8652FF52 00FFFFFF
	s_mul_i32 s82, s82, s71                                    // 000000005164: 92524752
	s_mul_i32 s61, s60, s61                                    // 000000005168: 923D3D3C
	s_add_u32 s82, s82, s61                                    // 00000000516C: 80523D52
	v_mul_lo_u32 v7, v4, s82                                   // 000000005170: D2850007 0000A504
	v_add_u32_e32 v44, v6, v7                                  // 000000005178: 68580F06
	v_readlane_b32 s82, v3, 2                                  // 00000000517C: D2890052 00010503
	s_lshr_b32 s61, s82, 24                                    // 000000005184: 8F3D9852
	s_and_b32 s82, s82, 0xffffff                               // 000000005188: 8652FF52 00FFFFFF
	s_mul_i32 s82, s82, s71                                    // 000000005190: 92524752
	s_mul_i32 s61, s60, s61                                    // 000000005194: 923D3D3C
	s_add_u32 s82, s82, s61                                    // 000000005198: 80523D52
	v_mul_lo_u32 v6, v5, s82                                   // 00000000519C: D2850006 0000A505
	v_readlane_b32 s82, v3, 3                                  // 0000000051A4: D2890052 00010703
	s_lshr_b32 s61, s82, 24                                    // 0000000051AC: 8F3D9852
	s_and_b32 s82, s82, 0xffffff                               // 0000000051B0: 8652FF52 00FFFFFF
	s_mul_i32 s82, s82, s71                                    // 0000000051B8: 92524752
	s_mul_i32 s61, s60, s61                                    // 0000000051BC: 923D3D3C
	s_add_u32 s82, s82, s61                                    // 0000000051C0: 80523D52
	v_mul_lo_u32 v7, v4, s82                                   // 0000000051C4: D2850007 0000A504
	v_add_u32_e32 v45, v6, v7                                  // 0000000051CC: 685A0F06
	v_readlane_b32 s82, v3, 4                                  // 0000000051D0: D2890052 00010903
	s_lshr_b32 s61, s82, 24                                    // 0000000051D8: 8F3D9852
	s_and_b32 s82, s82, 0xffffff                               // 0000000051DC: 8652FF52 00FFFFFF
	s_mul_i32 s82, s82, s71                                    // 0000000051E4: 92524752
	s_mul_i32 s61, s60, s61                                    // 0000000051E8: 923D3D3C
	s_add_u32 s82, s82, s61                                    // 0000000051EC: 80523D52
	v_mul_lo_u32 v6, v5, s82                                   // 0000000051F0: D2850006 0000A505
	v_readlane_b32 s82, v3, 5                                  // 0000000051F8: D2890052 00010B03
	s_lshr_b32 s61, s82, 24                                    // 000000005200: 8F3D9852
	s_and_b32 s82, s82, 0xffffff                               // 000000005204: 8652FF52 00FFFFFF
	s_mul_i32 s82, s82, s71                                    // 00000000520C: 92524752
	s_mul_i32 s61, s60, s61                                    // 000000005210: 923D3D3C
	s_add_u32 s82, s82, s61                                    // 000000005214: 80523D52
	v_mul_lo_u32 v7, v4, s82                                   // 000000005218: D2850007 0000A504
	v_add_u32_e32 v46, v6, v7                                  // 000000005220: 685C0F06
	v_readlane_b32 s82, v3, 6                                  // 000000005224: D2890052 00010D03
	s_lshr_b32 s61, s82, 24                                    // 00000000522C: 8F3D9852
	s_and_b32 s82, s82, 0xffffff                               // 000000005230: 8652FF52 00FFFFFF
	s_mul_i32 s82, s82, s71                                    // 000000005238: 92524752
	s_mul_i32 s61, s60, s61                                    // 00000000523C: 923D3D3C
	s_add_u32 s82, s82, s61                                    // 000000005240: 80523D52
	v_mul_lo_u32 v6, v5, s82                                   // 000000005244: D2850006 0000A505
	v_readlane_b32 s82, v3, 7                                  // 00000000524C: D2890052 00010F03
	s_lshr_b32 s61, s82, 24                                    // 000000005254: 8F3D9852
	s_and_b32 s82, s82, 0xffffff                               // 000000005258: 8652FF52 00FFFFFF
	s_mul_i32 s82, s82, s71                                    // 000000005260: 92524752
	s_mul_i32 s61, s60, s61                                    // 000000005264: 923D3D3C
	s_add_u32 s82, s82, s61                                    // 000000005268: 80523D52
	v_mul_lo_u32 v7, v4, s82                                   // 00000000526C: D2850007 0000A504
	v_add_u32_e32 v47, v6, v7                                  // 000000005274: 685E0F06
	v_readlane_b32 s82, v3, 8                                  // 000000005278: D2890052 00011103
	s_lshr_b32 s61, s82, 24                                    // 000000005280: 8F3D9852
	s_and_b32 s82, s82, 0xffffff                               // 000000005284: 8652FF52 00FFFFFF
	s_mul_i32 s82, s82, s71                                    // 00000000528C: 92524752
	s_mul_i32 s61, s60, s61                                    // 000000005290: 923D3D3C
	s_add_u32 s82, s82, s61                                    // 000000005294: 80523D52
	v_mul_lo_u32 v6, v5, s82                                   // 000000005298: D2850006 0000A505
	v_readlane_b32 s82, v3, 9                                  // 0000000052A0: D2890052 00011303
	s_lshr_b32 s61, s82, 24                                    // 0000000052A8: 8F3D9852
	s_and_b32 s82, s82, 0xffffff                               // 0000000052AC: 8652FF52 00FFFFFF
	s_mul_i32 s82, s82, s71                                    // 0000000052B4: 92524752
	s_mul_i32 s61, s60, s61                                    // 0000000052B8: 923D3D3C
	s_add_u32 s82, s82, s61                                    // 0000000052BC: 80523D52
	v_mul_lo_u32 v7, v4, s82                                   // 0000000052C0: D2850007 0000A504
	v_add_u32_e32 v48, v6, v7                                  // 0000000052C8: 68600F06
	v_readlane_b32 s82, v3, 10                                 // 0000000052CC: D2890052 00011503
	s_lshr_b32 s61, s82, 24                                    // 0000000052D4: 8F3D9852
	s_and_b32 s82, s82, 0xffffff                               // 0000000052D8: 8652FF52 00FFFFFF
	s_mul_i32 s82, s82, s71                                    // 0000000052E0: 92524752
	s_mul_i32 s61, s60, s61                                    // 0000000052E4: 923D3D3C
	s_add_u32 s82, s82, s61                                    // 0000000052E8: 80523D52
	v_mul_lo_u32 v6, v5, s82                                   // 0000000052EC: D2850006 0000A505
	v_readlane_b32 s82, v3, 11                                 // 0000000052F4: D2890052 00011703
	s_lshr_b32 s61, s82, 24                                    // 0000000052FC: 8F3D9852
	s_and_b32 s82, s82, 0xffffff                               // 000000005300: 8652FF52 00FFFFFF
	s_mul_i32 s82, s82, s71                                    // 000000005308: 92524752
	s_mul_i32 s61, s60, s61                                    // 00000000530C: 923D3D3C
	s_add_u32 s82, s82, s61                                    // 000000005310: 80523D52
	v_mul_lo_u32 v7, v4, s82                                   // 000000005314: D2850007 0000A504
	v_add_u32_e32 v49, v6, v7                                  // 00000000531C: 68620F06
	v_readlane_b32 s82, v3, 12                                 // 000000005320: D2890052 00011903
	s_lshr_b32 s61, s82, 24                                    // 000000005328: 8F3D9852
	s_and_b32 s82, s82, 0xffffff                               // 00000000532C: 8652FF52 00FFFFFF
	s_mul_i32 s82, s82, s71                                    // 000000005334: 92524752
	s_mul_i32 s61, s60, s61                                    // 000000005338: 923D3D3C
	s_add_u32 s82, s82, s61                                    // 00000000533C: 80523D52
	v_mul_lo_u32 v6, v5, s82                                   // 000000005340: D2850006 0000A505
	v_readlane_b32 s82, v3, 13                                 // 000000005348: D2890052 00011B03
	s_lshr_b32 s61, s82, 24                                    // 000000005350: 8F3D9852
	s_and_b32 s82, s82, 0xffffff                               // 000000005354: 8652FF52 00FFFFFF
	s_mul_i32 s82, s82, s71                                    // 00000000535C: 92524752
	s_mul_i32 s61, s60, s61                                    // 000000005360: 923D3D3C
	s_add_u32 s82, s82, s61                                    // 000000005364: 80523D52
	v_mul_lo_u32 v7, v4, s82                                   // 000000005368: D2850007 0000A504
	v_add_u32_e32 v50, v6, v7                                  // 000000005370: 68640F06
	v_readlane_b32 s82, v3, 14                                 // 000000005374: D2890052 00011D03
	s_lshr_b32 s61, s82, 24                                    // 00000000537C: 8F3D9852
	s_and_b32 s82, s82, 0xffffff                               // 000000005380: 8652FF52 00FFFFFF
	s_mul_i32 s82, s82, s71                                    // 000000005388: 92524752
	s_mul_i32 s61, s60, s61                                    // 00000000538C: 923D3D3C
	s_add_u32 s82, s82, s61                                    // 000000005390: 80523D52
	v_mul_lo_u32 v6, v5, s82                                   // 000000005394: D2850006 0000A505
	v_readlane_b32 s82, v3, 15                                 // 00000000539C: D2890052 00011F03
	s_lshr_b32 s61, s82, 24                                    // 0000000053A4: 8F3D9852
	s_and_b32 s82, s82, 0xffffff                               // 0000000053A8: 8652FF52 00FFFFFF
	s_mul_i32 s82, s82, s71                                    // 0000000053B0: 92524752
	s_mul_i32 s61, s60, s61                                    // 0000000053B4: 923D3D3C
	s_add_u32 s82, s82, s61                                    // 0000000053B8: 80523D52
	v_mul_lo_u32 v7, v4, s82                                   // 0000000053BC: D2850007 0000A504
	v_add_u32_e32 v51, v6, v7                                  // 0000000053C4: 68660F06
	v_and_b32_e32 v4, 31, v0                                   // 0000000053C8: 2608009F
	v_lshrrev_b32_e32 v4, 1, v4                                // 0000000053CC: 20080881
	s_cmp_eq_u32 s88, 0                                        // 0000000053D0: BF068058
	s_cselect_b32 s61, 2, 4                                    // 0000000053D4: 853D8482
	v_mul_lo_u32 v4, v4, s61                                   // 0000000053D8: D2850004 00007B04
	v_and_b32_e64 v5, v0, 1                                    // 0000000053E0: D1130005 00010300
	v_add_u32_e32 v4, v4, v5                                   // 0000000053E8: 68080B04
	v_lshlrev_b32_e32 v4, 2, v4                                // 0000000053EC: 24080882
	v_add_u32_e32 v44, v44, v4                                 // 0000000053F0: 6858092C
	v_add_u32_e32 v45, v45, v4                                 // 0000000053F4: 685A092D
	v_add_u32_e32 v46, v46, v4                                 // 0000000053F8: 685C092E
	v_add_u32_e32 v47, v47, v4                                 // 0000000053FC: 685E092F
	v_add_u32_e32 v48, v48, v4                                 // 000000005400: 68600930
	v_add_u32_e32 v49, v49, v4                                 // 000000005404: 68620931
	;; [unrolled: 1-line block ×3, first 2 shown]
	v_add_u32_e32 v51, v51, v4                                 // 00000000540C: 68660933
	s_waitcnt lgkmcnt(0)                                       // 000000005410: BF8CC07F
	s_barrier                                                  // 000000005414: BF8A0000
	ds_read_b32 v56, v21                                       // 000000005418: D86C0000 38000015
	ds_read_b32 v57, v21 offset:64                             // 000000005420: D86C0040 39000015
	ds_read_b32 v60, v21 offset:2176                           // 000000005428: D86C0880 3C000015
	ds_read_b32 v61, v21 offset:2240                           // 000000005430: D86C08C0 3D000015
	ds_read_b32 v64, v21 offset:4352                           // 000000005438: D86C1100 40000015
	ds_read_b32 v65, v21 offset:4416                           // 000000005440: D86C1140 41000015
	ds_read_b32 v68, v21 offset:6528                           // 000000005448: D86C1980 44000015
	ds_read_b32 v69, v21 offset:6592                           // 000000005450: D86C19C0 45000015
	ds_read_b32 v72, v21 offset:8704                           // 000000005458: D86C2200 48000015
	ds_read_b32 v73, v21 offset:8768                           // 000000005460: D86C2240 49000015
	ds_read_b32 v76, v21 offset:10880                          // 000000005468: D86C2A80 4C000015
	ds_read_b32 v77, v21 offset:10944                          // 000000005470: D86C2AC0 4D000015
	ds_read_b32 v80, v21 offset:13056                          // 000000005478: D86C3300 50000015
	ds_read_b32 v81, v21 offset:13120                          // 000000005480: D86C3340 51000015
	ds_read_b32 v84, v21 offset:15232                          // 000000005488: D86C3B80 54000015
	ds_read_b32 v85, v21 offset:15296                          // 000000005490: D86C3BC0 55000015
	s_waitcnt lgkmcnt(0)                                       // 000000005498: BF8CC07F
	s_mov_b32 s36, -1                                          // 00000000549C: BEA400C1
	s_mov_b32 s37, -1                                          // 0000000054A0: BEA500C1
	v_mov_b32_e32 v7, 0                                        // 0000000054A4: 7E0E0280
	s_mov_b64 exec, s[36:37]                                   // 0000000054A8: BEFE0124
	v_mov_b32_e32 v6, v44                                      // 0000000054AC: 7E0C032C
	s_mov_b64 s[60:61], 0                                      // 0000000054B0: BEBC0180
	v_readlane_b32 s82, v3, 0                                  // 0000000054B4: D2890052 00010103
	s_and_b32 s82, s82, 0xffffff                               // 0000000054BC: 8652FF52 00FFFFFF
	s_cmp_lt_u32 s82, s66                                      // 0000000054C4: BF0A4252
	s_cselect_b32 s20, s36, s60                                // 0000000054C8: 85143C24
	v_readlane_b32 s82, v3, 1                                  // 0000000054CC: D2890052 00010303
	s_and_b32 s82, s82, 0xffffff                               // 0000000054D4: 8652FF52 00FFFFFF
	s_cmp_lt_u32 s82, s66                                      // 0000000054DC: BF0A4252
	s_cselect_b32 s21, s36, s60                                // 0000000054E0: 85153C24
	s_mov_b64 exec, s[20:21]                                   // 0000000054E4: BEFE0114
	global_atomic_add_f32 v6, v56, s[8:9]                      // 0000000054E8: DD348000 00083806
	global_atomic_add_f32 v6, v60, s[8:9] offset:256           // 0000000054F0: DD348100 00083C06
	s_mov_b64 exec, s[36:37]                                   // 0000000054F8: BEFE0124
	v_mov_b32_e32 v6, v45                                      // 0000000054FC: 7E0C032D
	s_mov_b64 s[60:61], 0                                      // 000000005500: BEBC0180
	v_readlane_b32 s82, v3, 2                                  // 000000005504: D2890052 00010503
	s_and_b32 s82, s82, 0xffffff                               // 00000000550C: 8652FF52 00FFFFFF
	s_cmp_lt_u32 s82, s66                                      // 000000005514: BF0A4252
	s_cselect_b32 s20, s36, s60                                // 000000005518: 85143C24
	v_readlane_b32 s82, v3, 3                                  // 00000000551C: D2890052 00010703
	s_and_b32 s82, s82, 0xffffff                               // 000000005524: 8652FF52 00FFFFFF
	s_cmp_lt_u32 s82, s66                                      // 00000000552C: BF0A4252
	s_cselect_b32 s21, s36, s60                                // 000000005530: 85153C24
	s_mov_b64 exec, s[20:21]                                   // 000000005534: BEFE0114
	global_atomic_add_f32 v6, v57, s[8:9]                      // 000000005538: DD348000 00083906
	global_atomic_add_f32 v6, v61, s[8:9] offset:256           // 000000005540: DD348100 00083D06
	s_mov_b64 exec, s[36:37]                                   // 000000005548: BEFE0124
	v_mov_b32_e32 v6, v46                                      // 00000000554C: 7E0C032E
	s_mov_b64 s[60:61], 0                                      // 000000005550: BEBC0180
	v_readlane_b32 s82, v3, 4                                  // 000000005554: D2890052 00010903
	s_and_b32 s82, s82, 0xffffff                               // 00000000555C: 8652FF52 00FFFFFF
	s_cmp_lt_u32 s82, s66                                      // 000000005564: BF0A4252
	s_cselect_b32 s20, s36, s60                                // 000000005568: 85143C24
	v_readlane_b32 s82, v3, 5                                  // 00000000556C: D2890052 00010B03
	s_and_b32 s82, s82, 0xffffff                               // 000000005574: 8652FF52 00FFFFFF
	s_cmp_lt_u32 s82, s66                                      // 00000000557C: BF0A4252
	s_cselect_b32 s21, s36, s60                                // 000000005580: 85153C24
	s_mov_b64 exec, s[20:21]                                   // 000000005584: BEFE0114
	global_atomic_add_f32 v6, v64, s[8:9]                      // 000000005588: DD348000 00084006
	global_atomic_add_f32 v6, v68, s[8:9] offset:256           // 000000005590: DD348100 00084406
	s_mov_b64 exec, s[36:37]                                   // 000000005598: BEFE0124
	v_mov_b32_e32 v6, v47                                      // 00000000559C: 7E0C032F
	s_mov_b64 s[60:61], 0                                      // 0000000055A0: BEBC0180
	v_readlane_b32 s82, v3, 6                                  // 0000000055A4: D2890052 00010D03
	s_and_b32 s82, s82, 0xffffff                               // 0000000055AC: 8652FF52 00FFFFFF
	s_cmp_lt_u32 s82, s66                                      // 0000000055B4: BF0A4252
	s_cselect_b32 s20, s36, s60                                // 0000000055B8: 85143C24
	v_readlane_b32 s82, v3, 7                                  // 0000000055BC: D2890052 00010F03
	s_and_b32 s82, s82, 0xffffff                               // 0000000055C4: 8652FF52 00FFFFFF
	s_cmp_lt_u32 s82, s66                                      // 0000000055CC: BF0A4252
	s_cselect_b32 s21, s36, s60                                // 0000000055D0: 85153C24
	s_mov_b64 exec, s[20:21]                                   // 0000000055D4: BEFE0114
	global_atomic_add_f32 v6, v65, s[8:9]                      // 0000000055D8: DD348000 00084106
	global_atomic_add_f32 v6, v69, s[8:9] offset:256           // 0000000055E0: DD348100 00084506
	s_mov_b64 exec, s[36:37]                                   // 0000000055E8: BEFE0124
	v_mov_b32_e32 v6, v48                                      // 0000000055EC: 7E0C0330
	s_mov_b64 s[60:61], 0                                      // 0000000055F0: BEBC0180
	v_readlane_b32 s82, v3, 8                                  // 0000000055F4: D2890052 00011103
	s_and_b32 s82, s82, 0xffffff                               // 0000000055FC: 8652FF52 00FFFFFF
	s_cmp_lt_u32 s82, s66                                      // 000000005604: BF0A4252
	s_cselect_b32 s20, s36, s60                                // 000000005608: 85143C24
	v_readlane_b32 s82, v3, 9                                  // 00000000560C: D2890052 00011303
	s_and_b32 s82, s82, 0xffffff                               // 000000005614: 8652FF52 00FFFFFF
	s_cmp_lt_u32 s82, s66                                      // 00000000561C: BF0A4252
	s_cselect_b32 s21, s36, s60                                // 000000005620: 85153C24
	s_mov_b64 exec, s[20:21]                                   // 000000005624: BEFE0114
	global_atomic_add_f32 v6, v72, s[8:9]                      // 000000005628: DD348000 00084806
	global_atomic_add_f32 v6, v76, s[8:9] offset:256           // 000000005630: DD348100 00084C06
	s_mov_b64 exec, s[36:37]                                   // 000000005638: BEFE0124
	v_mov_b32_e32 v6, v49                                      // 00000000563C: 7E0C0331
	s_mov_b64 s[60:61], 0                                      // 000000005640: BEBC0180
	v_readlane_b32 s82, v3, 10                                 // 000000005644: D2890052 00011503
	s_and_b32 s82, s82, 0xffffff                               // 00000000564C: 8652FF52 00FFFFFF
	s_cmp_lt_u32 s82, s66                                      // 000000005654: BF0A4252
	s_cselect_b32 s20, s36, s60                                // 000000005658: 85143C24
	v_readlane_b32 s82, v3, 11                                 // 00000000565C: D2890052 00011703
	s_and_b32 s82, s82, 0xffffff                               // 000000005664: 8652FF52 00FFFFFF
	s_cmp_lt_u32 s82, s66                                      // 00000000566C: BF0A4252
	s_cselect_b32 s21, s36, s60                                // 000000005670: 85153C24
	s_mov_b64 exec, s[20:21]                                   // 000000005674: BEFE0114
	global_atomic_add_f32 v6, v73, s[8:9]                      // 000000005678: DD348000 00084906
	global_atomic_add_f32 v6, v77, s[8:9] offset:256           // 000000005680: DD348100 00084D06
	s_mov_b64 exec, s[36:37]                                   // 000000005688: BEFE0124
	v_mov_b32_e32 v6, v50                                      // 00000000568C: 7E0C0332
	s_mov_b64 s[60:61], 0                                      // 000000005690: BEBC0180
	v_readlane_b32 s82, v3, 12                                 // 000000005694: D2890052 00011903
	s_and_b32 s82, s82, 0xffffff                               // 00000000569C: 8652FF52 00FFFFFF
	s_cmp_lt_u32 s82, s66                                      // 0000000056A4: BF0A4252
	s_cselect_b32 s20, s36, s60                                // 0000000056A8: 85143C24
	v_readlane_b32 s82, v3, 13                                 // 0000000056AC: D2890052 00011B03
	s_and_b32 s82, s82, 0xffffff                               // 0000000056B4: 8652FF52 00FFFFFF
	s_cmp_lt_u32 s82, s66                                      // 0000000056BC: BF0A4252
	s_cselect_b32 s21, s36, s60                                // 0000000056C0: 85153C24
	s_mov_b64 exec, s[20:21]                                   // 0000000056C4: BEFE0114
	global_atomic_add_f32 v6, v80, s[8:9]                      // 0000000056C8: DD348000 00085006
	global_atomic_add_f32 v6, v84, s[8:9] offset:256           // 0000000056D0: DD348100 00085406
	s_mov_b64 exec, s[36:37]                                   // 0000000056D8: BEFE0124
	v_mov_b32_e32 v6, v51                                      // 0000000056DC: 7E0C0333
	s_mov_b64 s[60:61], 0                                      // 0000000056E0: BEBC0180
	v_readlane_b32 s82, v3, 14                                 // 0000000056E4: D2890052 00011D03
	s_and_b32 s82, s82, 0xffffff                               // 0000000056EC: 8652FF52 00FFFFFF
	s_cmp_lt_u32 s82, s66                                      // 0000000056F4: BF0A4252
	s_cselect_b32 s20, s36, s60                                // 0000000056F8: 85143C24
	v_readlane_b32 s82, v3, 15                                 // 0000000056FC: D2890052 00011F03
	s_and_b32 s82, s82, 0xffffff                               // 000000005704: 8652FF52 00FFFFFF
	s_cmp_lt_u32 s82, s66                                      // 00000000570C: BF0A4252
	s_cselect_b32 s21, s36, s60                                // 000000005710: 85153C24
	s_mov_b64 exec, s[20:21]                                   // 000000005714: BEFE0114
	global_atomic_add_f32 v6, v81, s[8:9]                      // 000000005718: DD348000 00085106
	global_atomic_add_f32 v6, v85, s[8:9] offset:256           // 000000005720: DD348100 00085506
	s_mov_b64 exec, s[36:37]                                   // 000000005728: BEFE0124
	ds_write_b64 v20, v[58:59]                                 // 00000000572C: D89A0000 00003A14
	ds_write_b64 v20, v[62:63] offset:4352                     // 000000005734: D89A1100 00003E14
	ds_write_b64 v20, v[66:67] offset:8704                     // 00000000573C: D89A2200 00004214
	ds_write_b64 v20, v[70:71] offset:13056                    // 000000005744: D89A3300 00004614
	ds_write_b64 v20, v[74:75] offset:2176                     // 00000000574C: D89A0880 00004A14
	ds_write_b64 v20, v[78:79] offset:6528                     // 000000005754: D89A1980 00004E14
	ds_write_b64 v20, v[82:83] offset:10880                    // 00000000575C: D89A2A80 00005214
	ds_write_b64 v20, v[86:87] offset:15232                    // 000000005764: D89A3B80 00005614
	s_waitcnt lgkmcnt(0)                                       // 00000000576C: BF8CC07F
	s_barrier                                                  // 000000005770: BF8A0000
	ds_read_b32 v58, v21                                       // 000000005774: D86C0000 3A000015
	ds_read_b32 v59, v21 offset:64                             // 00000000577C: D86C0040 3B000015
	ds_read_b32 v62, v21 offset:2176                           // 000000005784: D86C0880 3E000015
	ds_read_b32 v63, v21 offset:2240                           // 00000000578C: D86C08C0 3F000015
	ds_read_b32 v66, v21 offset:4352                           // 000000005794: D86C1100 42000015
	ds_read_b32 v67, v21 offset:4416                           // 00000000579C: D86C1140 43000015
	ds_read_b32 v70, v21 offset:6528                           // 0000000057A4: D86C1980 46000015
	ds_read_b32 v71, v21 offset:6592                           // 0000000057AC: D86C19C0 47000015
	ds_read_b32 v74, v21 offset:8704                           // 0000000057B4: D86C2200 4A000015
	ds_read_b32 v75, v21 offset:8768                           // 0000000057BC: D86C2240 4B000015
	ds_read_b32 v78, v21 offset:10880                          // 0000000057C4: D86C2A80 4E000015
	ds_read_b32 v79, v21 offset:10944                          // 0000000057CC: D86C2AC0 4F000015
	ds_read_b32 v82, v21 offset:13056                          // 0000000057D4: D86C3300 52000015
	ds_read_b32 v83, v21 offset:13120                          // 0000000057DC: D86C3340 53000015
	ds_read_b32 v86, v21 offset:15232                          // 0000000057E4: D86C3B80 56000015
	ds_read_b32 v87, v21 offset:15296                          // 0000000057EC: D86C3BC0 57000015
	s_waitcnt lgkmcnt(0)                                       // 0000000057F4: BF8CC07F
	v_mov_b32_e32 v7, 0                                        // 0000000057F8: 7E0E0280
	s_mov_b64 exec, s[36:37]                                   // 0000000057FC: BEFE0124
	v_mov_b32_e32 v6, v44                                      // 000000005800: 7E0C032C
	s_mov_b64 s[60:61], 0                                      // 000000005804: BEBC0180
	v_readlane_b32 s82, v3, 0                                  // 000000005808: D2890052 00010103
	s_and_b32 s82, s82, 0xffffff                               // 000000005810: 8652FF52 00FFFFFF
	s_cmp_lt_u32 s82, s66                                      // 000000005818: BF0A4252
	s_cselect_b32 s20, s36, s60                                // 00000000581C: 85143C24
	v_readlane_b32 s82, v3, 1                                  // 000000005820: D2890052 00010303
	s_and_b32 s82, s82, 0xffffff                               // 000000005828: 8652FF52 00FFFFFF
	s_cmp_lt_u32 s82, s66                                      // 000000005830: BF0A4252
	s_cselect_b32 s21, s36, s60                                // 000000005834: 85153C24
	s_mov_b64 exec, s[20:21]                                   // 000000005838: BEFE0114
	global_atomic_add_f32 v6, v58, s[8:9] offset:8             // 00000000583C: DD348008 00083A06
	global_atomic_add_f32 v6, v62, s[8:9] offset:264           // 000000005844: DD348108 00083E06
	s_mov_b64 exec, s[36:37]                                   // 00000000584C: BEFE0124
	v_mov_b32_e32 v6, v45                                      // 000000005850: 7E0C032D
	s_mov_b64 s[60:61], 0                                      // 000000005854: BEBC0180
	v_readlane_b32 s82, v3, 2                                  // 000000005858: D2890052 00010503
	s_and_b32 s82, s82, 0xffffff                               // 000000005860: 8652FF52 00FFFFFF
	s_cmp_lt_u32 s82, s66                                      // 000000005868: BF0A4252
	s_cselect_b32 s20, s36, s60                                // 00000000586C: 85143C24
	v_readlane_b32 s82, v3, 3                                  // 000000005870: D2890052 00010703
	s_and_b32 s82, s82, 0xffffff                               // 000000005878: 8652FF52 00FFFFFF
	s_cmp_lt_u32 s82, s66                                      // 000000005880: BF0A4252
	s_cselect_b32 s21, s36, s60                                // 000000005884: 85153C24
	s_mov_b64 exec, s[20:21]                                   // 000000005888: BEFE0114
	global_atomic_add_f32 v6, v59, s[8:9] offset:8             // 00000000588C: DD348008 00083B06
	global_atomic_add_f32 v6, v63, s[8:9] offset:264           // 000000005894: DD348108 00083F06
	s_mov_b64 exec, s[36:37]                                   // 00000000589C: BEFE0124
	v_mov_b32_e32 v6, v46                                      // 0000000058A0: 7E0C032E
	s_mov_b64 s[60:61], 0                                      // 0000000058A4: BEBC0180
	v_readlane_b32 s82, v3, 4                                  // 0000000058A8: D2890052 00010903
	s_and_b32 s82, s82, 0xffffff                               // 0000000058B0: 8652FF52 00FFFFFF
	s_cmp_lt_u32 s82, s66                                      // 0000000058B8: BF0A4252
	s_cselect_b32 s20, s36, s60                                // 0000000058BC: 85143C24
	v_readlane_b32 s82, v3, 5                                  // 0000000058C0: D2890052 00010B03
	s_and_b32 s82, s82, 0xffffff                               // 0000000058C8: 8652FF52 00FFFFFF
	s_cmp_lt_u32 s82, s66                                      // 0000000058D0: BF0A4252
	s_cselect_b32 s21, s36, s60                                // 0000000058D4: 85153C24
	s_mov_b64 exec, s[20:21]                                   // 0000000058D8: BEFE0114
	global_atomic_add_f32 v6, v66, s[8:9] offset:8             // 0000000058DC: DD348008 00084206
	global_atomic_add_f32 v6, v70, s[8:9] offset:264           // 0000000058E4: DD348108 00084606
	s_mov_b64 exec, s[36:37]                                   // 0000000058EC: BEFE0124
	v_mov_b32_e32 v6, v47                                      // 0000000058F0: 7E0C032F
	s_mov_b64 s[60:61], 0                                      // 0000000058F4: BEBC0180
	v_readlane_b32 s82, v3, 6                                  // 0000000058F8: D2890052 00010D03
	s_and_b32 s82, s82, 0xffffff                               // 000000005900: 8652FF52 00FFFFFF
	s_cmp_lt_u32 s82, s66                                      // 000000005908: BF0A4252
	s_cselect_b32 s20, s36, s60                                // 00000000590C: 85143C24
	v_readlane_b32 s82, v3, 7                                  // 000000005910: D2890052 00010F03
	s_and_b32 s82, s82, 0xffffff                               // 000000005918: 8652FF52 00FFFFFF
	s_cmp_lt_u32 s82, s66                                      // 000000005920: BF0A4252
	s_cselect_b32 s21, s36, s60                                // 000000005924: 85153C24
	s_mov_b64 exec, s[20:21]                                   // 000000005928: BEFE0114
	global_atomic_add_f32 v6, v67, s[8:9] offset:8             // 00000000592C: DD348008 00084306
	global_atomic_add_f32 v6, v71, s[8:9] offset:264           // 000000005934: DD348108 00084706
	s_mov_b64 exec, s[36:37]                                   // 00000000593C: BEFE0124
	v_mov_b32_e32 v6, v48                                      // 000000005940: 7E0C0330
	s_mov_b64 s[60:61], 0                                      // 000000005944: BEBC0180
	v_readlane_b32 s82, v3, 8                                  // 000000005948: D2890052 00011103
	s_and_b32 s82, s82, 0xffffff                               // 000000005950: 8652FF52 00FFFFFF
	s_cmp_lt_u32 s82, s66                                      // 000000005958: BF0A4252
	s_cselect_b32 s20, s36, s60                                // 00000000595C: 85143C24
	v_readlane_b32 s82, v3, 9                                  // 000000005960: D2890052 00011303
	s_and_b32 s82, s82, 0xffffff                               // 000000005968: 8652FF52 00FFFFFF
	s_cmp_lt_u32 s82, s66                                      // 000000005970: BF0A4252
	s_cselect_b32 s21, s36, s60                                // 000000005974: 85153C24
	s_mov_b64 exec, s[20:21]                                   // 000000005978: BEFE0114
	global_atomic_add_f32 v6, v74, s[8:9] offset:8             // 00000000597C: DD348008 00084A06
	global_atomic_add_f32 v6, v78, s[8:9] offset:264           // 000000005984: DD348108 00084E06
	s_mov_b64 exec, s[36:37]                                   // 00000000598C: BEFE0124
	v_mov_b32_e32 v6, v49                                      // 000000005990: 7E0C0331
	s_mov_b64 s[60:61], 0                                      // 000000005994: BEBC0180
	v_readlane_b32 s82, v3, 10                                 // 000000005998: D2890052 00011503
	s_and_b32 s82, s82, 0xffffff                               // 0000000059A0: 8652FF52 00FFFFFF
	s_cmp_lt_u32 s82, s66                                      // 0000000059A8: BF0A4252
	s_cselect_b32 s20, s36, s60                                // 0000000059AC: 85143C24
	v_readlane_b32 s82, v3, 11                                 // 0000000059B0: D2890052 00011703
	s_and_b32 s82, s82, 0xffffff                               // 0000000059B8: 8652FF52 00FFFFFF
	s_cmp_lt_u32 s82, s66                                      // 0000000059C0: BF0A4252
	s_cselect_b32 s21, s36, s60                                // 0000000059C4: 85153C24
	s_mov_b64 exec, s[20:21]                                   // 0000000059C8: BEFE0114
	global_atomic_add_f32 v6, v75, s[8:9] offset:8             // 0000000059CC: DD348008 00084B06
	global_atomic_add_f32 v6, v79, s[8:9] offset:264           // 0000000059D4: DD348108 00084F06
	s_mov_b64 exec, s[36:37]                                   // 0000000059DC: BEFE0124
	v_mov_b32_e32 v6, v50                                      // 0000000059E0: 7E0C0332
	s_mov_b64 s[60:61], 0                                      // 0000000059E4: BEBC0180
	v_readlane_b32 s82, v3, 12                                 // 0000000059E8: D2890052 00011903
	s_and_b32 s82, s82, 0xffffff                               // 0000000059F0: 8652FF52 00FFFFFF
	s_cmp_lt_u32 s82, s66                                      // 0000000059F8: BF0A4252
	s_cselect_b32 s20, s36, s60                                // 0000000059FC: 85143C24
	v_readlane_b32 s82, v3, 13                                 // 000000005A00: D2890052 00011B03
	s_and_b32 s82, s82, 0xffffff                               // 000000005A08: 8652FF52 00FFFFFF
	s_cmp_lt_u32 s82, s66                                      // 000000005A10: BF0A4252
	s_cselect_b32 s21, s36, s60                                // 000000005A14: 85153C24
	s_mov_b64 exec, s[20:21]                                   // 000000005A18: BEFE0114
	global_atomic_add_f32 v6, v82, s[8:9] offset:8             // 000000005A1C: DD348008 00085206
	global_atomic_add_f32 v6, v86, s[8:9] offset:264           // 000000005A24: DD348108 00085606
	s_mov_b64 exec, s[36:37]                                   // 000000005A2C: BEFE0124
	v_mov_b32_e32 v6, v51                                      // 000000005A30: 7E0C0333
	s_mov_b64 s[60:61], 0                                      // 000000005A34: BEBC0180
	v_readlane_b32 s82, v3, 14                                 // 000000005A38: D2890052 00011D03
	s_and_b32 s82, s82, 0xffffff                               // 000000005A40: 8652FF52 00FFFFFF
	s_cmp_lt_u32 s82, s66                                      // 000000005A48: BF0A4252
	s_cselect_b32 s20, s36, s60                                // 000000005A4C: 85143C24
	v_readlane_b32 s82, v3, 15                                 // 000000005A50: D2890052 00011F03
	s_and_b32 s82, s82, 0xffffff                               // 000000005A58: 8652FF52 00FFFFFF
	s_cmp_lt_u32 s82, s66                                      // 000000005A60: BF0A4252
	s_cselect_b32 s21, s36, s60                                // 000000005A64: 85153C24
	s_mov_b64 exec, s[20:21]                                   // 000000005A68: BEFE0114
	global_atomic_add_f32 v6, v83, s[8:9] offset:8             // 000000005A6C: DD348008 00085306
	global_atomic_add_f32 v6, v87, s[8:9] offset:264           // 000000005A74: DD348108 00085706
	s_mov_b64 exec, s[36:37]                                   // 000000005A7C: BEFE0124
	ds_write_b64 v20, v[88:89]                                 // 000000005A80: D89A0000 00005814
	ds_write_b64 v20, v[92:93] offset:4352                     // 000000005A88: D89A1100 00005C14
	ds_write_b64 v20, v[96:97] offset:8704                     // 000000005A90: D89A2200 00006014
	ds_write_b64 v20, v[100:101] offset:13056                  // 000000005A98: D89A3300 00006414
	ds_write_b64 v20, v[104:105] offset:2176                   // 000000005AA0: D89A0880 00006814
	ds_write_b64 v20, v[108:109] offset:6528                   // 000000005AA8: D89A1980 00006C14
	ds_write_b64 v20, v[112:113] offset:10880                  // 000000005AB0: D89A2A80 00007014
	ds_write_b64 v20, v[116:117] offset:15232                  // 000000005AB8: D89A3B80 00007414
	s_waitcnt lgkmcnt(0)                                       // 000000005AC0: BF8CC07F
	s_barrier                                                  // 000000005AC4: BF8A0000
	ds_read_b32 v88, v21                                       // 000000005AC8: D86C0000 58000015
	ds_read_b32 v89, v21 offset:64                             // 000000005AD0: D86C0040 59000015
	ds_read_b32 v92, v21 offset:2176                           // 000000005AD8: D86C0880 5C000015
	ds_read_b32 v93, v21 offset:2240                           // 000000005AE0: D86C08C0 5D000015
	ds_read_b32 v96, v21 offset:4352                           // 000000005AE8: D86C1100 60000015
	ds_read_b32 v97, v21 offset:4416                           // 000000005AF0: D86C1140 61000015
	ds_read_b32 v100, v21 offset:6528                          // 000000005AF8: D86C1980 64000015
	ds_read_b32 v101, v21 offset:6592                          // 000000005B00: D86C19C0 65000015
	ds_read_b32 v104, v21 offset:8704                          // 000000005B08: D86C2200 68000015
	ds_read_b32 v105, v21 offset:8768                          // 000000005B10: D86C2240 69000015
	ds_read_b32 v108, v21 offset:10880                         // 000000005B18: D86C2A80 6C000015
	ds_read_b32 v109, v21 offset:10944                         // 000000005B20: D86C2AC0 6D000015
	ds_read_b32 v112, v21 offset:13056                         // 000000005B28: D86C3300 70000015
	ds_read_b32 v113, v21 offset:13120                         // 000000005B30: D86C3340 71000015
	ds_read_b32 v116, v21 offset:15232                         // 000000005B38: D86C3B80 74000015
	ds_read_b32 v117, v21 offset:15296                         // 000000005B40: D86C3BC0 75000015
	s_mul_i32 s60, s65, 4                                      // 000000005B48: 923C8441
	s_add_u32 s8, s60, s8                                      // 000000005B4C: 8008083C
	s_addc_u32 s9, 0, s9                                       // 000000005B50: 82090980
	s_waitcnt lgkmcnt(0)                                       // 000000005B54: BF8CC07F
	v_mov_b32_e32 v7, 0                                        // 000000005B58: 7E0E0280
	s_mov_b64 exec, s[36:37]                                   // 000000005B5C: BEFE0124
	v_mov_b32_e32 v6, v44                                      // 000000005B60: 7E0C032C
	s_mov_b64 s[60:61], 0                                      // 000000005B64: BEBC0180
	v_readlane_b32 s82, v3, 0                                  // 000000005B68: D2890052 00010103
	s_and_b32 s82, s82, 0xffffff                               // 000000005B70: 8652FF52 00FFFFFF
	s_cmp_lt_u32 s82, s66                                      // 000000005B78: BF0A4252
	s_cselect_b32 s20, s36, s60                                // 000000005B7C: 85143C24
	v_readlane_b32 s82, v3, 1                                  // 000000005B80: D2890052 00010303
	s_and_b32 s82, s82, 0xffffff                               // 000000005B88: 8652FF52 00FFFFFF
	s_cmp_lt_u32 s82, s66                                      // 000000005B90: BF0A4252
	s_cselect_b32 s21, s36, s60                                // 000000005B94: 85153C24
	s_mov_b64 exec, s[20:21]                                   // 000000005B98: BEFE0114
	global_atomic_add_f32 v6, v88, s[8:9]                      // 000000005B9C: DD348000 00085806
	global_atomic_add_f32 v6, v92, s[8:9] offset:256           // 000000005BA4: DD348100 00085C06
	s_mov_b64 exec, s[36:37]                                   // 000000005BAC: BEFE0124
	v_mov_b32_e32 v6, v45                                      // 000000005BB0: 7E0C032D
	s_mov_b64 s[60:61], 0                                      // 000000005BB4: BEBC0180
	v_readlane_b32 s82, v3, 2                                  // 000000005BB8: D2890052 00010503
	s_and_b32 s82, s82, 0xffffff                               // 000000005BC0: 8652FF52 00FFFFFF
	s_cmp_lt_u32 s82, s66                                      // 000000005BC8: BF0A4252
	s_cselect_b32 s20, s36, s60                                // 000000005BCC: 85143C24
	v_readlane_b32 s82, v3, 3                                  // 000000005BD0: D2890052 00010703
	s_and_b32 s82, s82, 0xffffff                               // 000000005BD8: 8652FF52 00FFFFFF
	s_cmp_lt_u32 s82, s66                                      // 000000005BE0: BF0A4252
	s_cselect_b32 s21, s36, s60                                // 000000005BE4: 85153C24
	s_mov_b64 exec, s[20:21]                                   // 000000005BE8: BEFE0114
	global_atomic_add_f32 v6, v89, s[8:9]                      // 000000005BEC: DD348000 00085906
	global_atomic_add_f32 v6, v93, s[8:9] offset:256           // 000000005BF4: DD348100 00085D06
	s_mov_b64 exec, s[36:37]                                   // 000000005BFC: BEFE0124
	v_mov_b32_e32 v6, v46                                      // 000000005C00: 7E0C032E
	s_mov_b64 s[60:61], 0                                      // 000000005C04: BEBC0180
	v_readlane_b32 s82, v3, 4                                  // 000000005C08: D2890052 00010903
	s_and_b32 s82, s82, 0xffffff                               // 000000005C10: 8652FF52 00FFFFFF
	s_cmp_lt_u32 s82, s66                                      // 000000005C18: BF0A4252
	s_cselect_b32 s20, s36, s60                                // 000000005C1C: 85143C24
	v_readlane_b32 s82, v3, 5                                  // 000000005C20: D2890052 00010B03
	s_and_b32 s82, s82, 0xffffff                               // 000000005C28: 8652FF52 00FFFFFF
	s_cmp_lt_u32 s82, s66                                      // 000000005C30: BF0A4252
	s_cselect_b32 s21, s36, s60                                // 000000005C34: 85153C24
	s_mov_b64 exec, s[20:21]                                   // 000000005C38: BEFE0114
	global_atomic_add_f32 v6, v96, s[8:9]                      // 000000005C3C: DD348000 00086006
	global_atomic_add_f32 v6, v100, s[8:9] offset:256          // 000000005C44: DD348100 00086406
	s_mov_b64 exec, s[36:37]                                   // 000000005C4C: BEFE0124
	v_mov_b32_e32 v6, v47                                      // 000000005C50: 7E0C032F
	s_mov_b64 s[60:61], 0                                      // 000000005C54: BEBC0180
	v_readlane_b32 s82, v3, 6                                  // 000000005C58: D2890052 00010D03
	s_and_b32 s82, s82, 0xffffff                               // 000000005C60: 8652FF52 00FFFFFF
	s_cmp_lt_u32 s82, s66                                      // 000000005C68: BF0A4252
	s_cselect_b32 s20, s36, s60                                // 000000005C6C: 85143C24
	v_readlane_b32 s82, v3, 7                                  // 000000005C70: D2890052 00010F03
	s_and_b32 s82, s82, 0xffffff                               // 000000005C78: 8652FF52 00FFFFFF
	s_cmp_lt_u32 s82, s66                                      // 000000005C80: BF0A4252
	s_cselect_b32 s21, s36, s60                                // 000000005C84: 85153C24
	s_mov_b64 exec, s[20:21]                                   // 000000005C88: BEFE0114
	global_atomic_add_f32 v6, v97, s[8:9]                      // 000000005C8C: DD348000 00086106
	global_atomic_add_f32 v6, v101, s[8:9] offset:256          // 000000005C94: DD348100 00086506
	s_mov_b64 exec, s[36:37]                                   // 000000005C9C: BEFE0124
	v_mov_b32_e32 v6, v48                                      // 000000005CA0: 7E0C0330
	s_mov_b64 s[60:61], 0                                      // 000000005CA4: BEBC0180
	v_readlane_b32 s82, v3, 8                                  // 000000005CA8: D2890052 00011103
	s_and_b32 s82, s82, 0xffffff                               // 000000005CB0: 8652FF52 00FFFFFF
	s_cmp_lt_u32 s82, s66                                      // 000000005CB8: BF0A4252
	s_cselect_b32 s20, s36, s60                                // 000000005CBC: 85143C24
	v_readlane_b32 s82, v3, 9                                  // 000000005CC0: D2890052 00011303
	s_and_b32 s82, s82, 0xffffff                               // 000000005CC8: 8652FF52 00FFFFFF
	s_cmp_lt_u32 s82, s66                                      // 000000005CD0: BF0A4252
	s_cselect_b32 s21, s36, s60                                // 000000005CD4: 85153C24
	s_mov_b64 exec, s[20:21]                                   // 000000005CD8: BEFE0114
	global_atomic_add_f32 v6, v104, s[8:9]                     // 000000005CDC: DD348000 00086806
	global_atomic_add_f32 v6, v108, s[8:9] offset:256          // 000000005CE4: DD348100 00086C06
	s_mov_b64 exec, s[36:37]                                   // 000000005CEC: BEFE0124
	v_mov_b32_e32 v6, v49                                      // 000000005CF0: 7E0C0331
	s_mov_b64 s[60:61], 0                                      // 000000005CF4: BEBC0180
	v_readlane_b32 s82, v3, 10                                 // 000000005CF8: D2890052 00011503
	s_and_b32 s82, s82, 0xffffff                               // 000000005D00: 8652FF52 00FFFFFF
	s_cmp_lt_u32 s82, s66                                      // 000000005D08: BF0A4252
	s_cselect_b32 s20, s36, s60                                // 000000005D0C: 85143C24
	v_readlane_b32 s82, v3, 11                                 // 000000005D10: D2890052 00011703
	s_and_b32 s82, s82, 0xffffff                               // 000000005D18: 8652FF52 00FFFFFF
	s_cmp_lt_u32 s82, s66                                      // 000000005D20: BF0A4252
	s_cselect_b32 s21, s36, s60                                // 000000005D24: 85153C24
	s_mov_b64 exec, s[20:21]                                   // 000000005D28: BEFE0114
	global_atomic_add_f32 v6, v105, s[8:9]                     // 000000005D2C: DD348000 00086906
	global_atomic_add_f32 v6, v109, s[8:9] offset:256          // 000000005D34: DD348100 00086D06
	s_mov_b64 exec, s[36:37]                                   // 000000005D3C: BEFE0124
	v_mov_b32_e32 v6, v50                                      // 000000005D40: 7E0C0332
	s_mov_b64 s[60:61], 0                                      // 000000005D44: BEBC0180
	v_readlane_b32 s82, v3, 12                                 // 000000005D48: D2890052 00011903
	s_and_b32 s82, s82, 0xffffff                               // 000000005D50: 8652FF52 00FFFFFF
	s_cmp_lt_u32 s82, s66                                      // 000000005D58: BF0A4252
	s_cselect_b32 s20, s36, s60                                // 000000005D5C: 85143C24
	v_readlane_b32 s82, v3, 13                                 // 000000005D60: D2890052 00011B03
	s_and_b32 s82, s82, 0xffffff                               // 000000005D68: 8652FF52 00FFFFFF
	s_cmp_lt_u32 s82, s66                                      // 000000005D70: BF0A4252
	s_cselect_b32 s21, s36, s60                                // 000000005D74: 85153C24
	s_mov_b64 exec, s[20:21]                                   // 000000005D78: BEFE0114
	global_atomic_add_f32 v6, v112, s[8:9]                     // 000000005D7C: DD348000 00087006
	global_atomic_add_f32 v6, v116, s[8:9] offset:256          // 000000005D84: DD348100 00087406
	s_mov_b64 exec, s[36:37]                                   // 000000005D8C: BEFE0124
	v_mov_b32_e32 v6, v51                                      // 000000005D90: 7E0C0333
	s_mov_b64 s[60:61], 0                                      // 000000005D94: BEBC0180
	v_readlane_b32 s82, v3, 14                                 // 000000005D98: D2890052 00011D03
	s_and_b32 s82, s82, 0xffffff                               // 000000005DA0: 8652FF52 00FFFFFF
	s_cmp_lt_u32 s82, s66                                      // 000000005DA8: BF0A4252
	s_cselect_b32 s20, s36, s60                                // 000000005DAC: 85143C24
	v_readlane_b32 s82, v3, 15                                 // 000000005DB0: D2890052 00011F03
	s_and_b32 s82, s82, 0xffffff                               // 000000005DB8: 8652FF52 00FFFFFF
	s_cmp_lt_u32 s82, s66                                      // 000000005DC0: BF0A4252
	s_cselect_b32 s21, s36, s60                                // 000000005DC4: 85153C24
	s_mov_b64 exec, s[20:21]                                   // 000000005DC8: BEFE0114
	global_atomic_add_f32 v6, v113, s[8:9]                     // 000000005DCC: DD348000 00087106
	global_atomic_add_f32 v6, v117, s[8:9] offset:256          // 000000005DD4: DD348100 00087506
	s_mov_b64 exec, s[36:37]                                   // 000000005DDC: BEFE0124
	ds_write_b64 v20, v[90:91]                                 // 000000005DE0: D89A0000 00005A14
	ds_write_b64 v20, v[94:95] offset:4352                     // 000000005DE8: D89A1100 00005E14
	ds_write_b64 v20, v[98:99] offset:8704                     // 000000005DF0: D89A2200 00006214
	ds_write_b64 v20, v[102:103] offset:13056                  // 000000005DF8: D89A3300 00006614
	ds_write_b64 v20, v[106:107] offset:2176                   // 000000005E00: D89A0880 00006A14
	ds_write_b64 v20, v[110:111] offset:6528                   // 000000005E08: D89A1980 00006E14
	ds_write_b64 v20, v[114:115] offset:10880                  // 000000005E10: D89A2A80 00007214
	ds_write_b64 v20, v[118:119] offset:15232                  // 000000005E18: D89A3B80 00007614
	s_waitcnt lgkmcnt(0)                                       // 000000005E20: BF8CC07F
	s_barrier                                                  // 000000005E24: BF8A0000
	ds_read_b32 v90, v21                                       // 000000005E28: D86C0000 5A000015
	ds_read_b32 v91, v21 offset:64                             // 000000005E30: D86C0040 5B000015
	ds_read_b32 v94, v21 offset:2176                           // 000000005E38: D86C0880 5E000015
	ds_read_b32 v95, v21 offset:2240                           // 000000005E40: D86C08C0 5F000015
	ds_read_b32 v98, v21 offset:4352                           // 000000005E48: D86C1100 62000015
	ds_read_b32 v99, v21 offset:4416                           // 000000005E50: D86C1140 63000015
	ds_read_b32 v102, v21 offset:6528                          // 000000005E58: D86C1980 66000015
	ds_read_b32 v103, v21 offset:6592                          // 000000005E60: D86C19C0 67000015
	ds_read_b32 v106, v21 offset:8704                          // 000000005E68: D86C2200 6A000015
	ds_read_b32 v107, v21 offset:8768                          // 000000005E70: D86C2240 6B000015
	ds_read_b32 v110, v21 offset:10880                         // 000000005E78: D86C2A80 6E000015
	ds_read_b32 v111, v21 offset:10944                         // 000000005E80: D86C2AC0 6F000015
	ds_read_b32 v114, v21 offset:13056                         // 000000005E88: D86C3300 72000015
	ds_read_b32 v115, v21 offset:13120                         // 000000005E90: D86C3340 73000015
	ds_read_b32 v118, v21 offset:15232                         // 000000005E98: D86C3B80 76000015
	ds_read_b32 v119, v21 offset:15296                         // 000000005EA0: D86C3BC0 77000015
	s_waitcnt lgkmcnt(0)                                       // 000000005EA8: BF8CC07F
	v_mov_b32_e32 v7, 0                                        // 000000005EAC: 7E0E0280
	s_mov_b64 exec, s[36:37]                                   // 000000005EB0: BEFE0124
	v_mov_b32_e32 v6, v44                                      // 000000005EB4: 7E0C032C
	s_mov_b64 s[60:61], 0                                      // 000000005EB8: BEBC0180
	v_readlane_b32 s82, v3, 0                                  // 000000005EBC: D2890052 00010103
	s_and_b32 s82, s82, 0xffffff                               // 000000005EC4: 8652FF52 00FFFFFF
	s_cmp_lt_u32 s82, s66                                      // 000000005ECC: BF0A4252
	s_cselect_b32 s20, s36, s60                                // 000000005ED0: 85143C24
	v_readlane_b32 s82, v3, 1                                  // 000000005ED4: D2890052 00010303
	s_and_b32 s82, s82, 0xffffff                               // 000000005EDC: 8652FF52 00FFFFFF
	s_cmp_lt_u32 s82, s66                                      // 000000005EE4: BF0A4252
	s_cselect_b32 s21, s36, s60                                // 000000005EE8: 85153C24
	s_mov_b64 exec, s[20:21]                                   // 000000005EEC: BEFE0114
	global_atomic_add_f32 v6, v90, s[8:9] offset:8             // 000000005EF0: DD348008 00085A06
	global_atomic_add_f32 v6, v94, s[8:9] offset:264           // 000000005EF8: DD348108 00085E06
	s_mov_b64 exec, s[36:37]                                   // 000000005F00: BEFE0124
	v_mov_b32_e32 v6, v45                                      // 000000005F04: 7E0C032D
	s_mov_b64 s[60:61], 0                                      // 000000005F08: BEBC0180
	v_readlane_b32 s82, v3, 2                                  // 000000005F0C: D2890052 00010503
	s_and_b32 s82, s82, 0xffffff                               // 000000005F14: 8652FF52 00FFFFFF
	s_cmp_lt_u32 s82, s66                                      // 000000005F1C: BF0A4252
	s_cselect_b32 s20, s36, s60                                // 000000005F20: 85143C24
	v_readlane_b32 s82, v3, 3                                  // 000000005F24: D2890052 00010703
	s_and_b32 s82, s82, 0xffffff                               // 000000005F2C: 8652FF52 00FFFFFF
	s_cmp_lt_u32 s82, s66                                      // 000000005F34: BF0A4252
	s_cselect_b32 s21, s36, s60                                // 000000005F38: 85153C24
	s_mov_b64 exec, s[20:21]                                   // 000000005F3C: BEFE0114
	global_atomic_add_f32 v6, v91, s[8:9] offset:8             // 000000005F40: DD348008 00085B06
	global_atomic_add_f32 v6, v95, s[8:9] offset:264           // 000000005F48: DD348108 00085F06
	s_mov_b64 exec, s[36:37]                                   // 000000005F50: BEFE0124
	v_mov_b32_e32 v6, v46                                      // 000000005F54: 7E0C032E
	s_mov_b64 s[60:61], 0                                      // 000000005F58: BEBC0180
	v_readlane_b32 s82, v3, 4                                  // 000000005F5C: D2890052 00010903
	s_and_b32 s82, s82, 0xffffff                               // 000000005F64: 8652FF52 00FFFFFF
	s_cmp_lt_u32 s82, s66                                      // 000000005F6C: BF0A4252
	s_cselect_b32 s20, s36, s60                                // 000000005F70: 85143C24
	v_readlane_b32 s82, v3, 5                                  // 000000005F74: D2890052 00010B03
	s_and_b32 s82, s82, 0xffffff                               // 000000005F7C: 8652FF52 00FFFFFF
	s_cmp_lt_u32 s82, s66                                      // 000000005F84: BF0A4252
	s_cselect_b32 s21, s36, s60                                // 000000005F88: 85153C24
	s_mov_b64 exec, s[20:21]                                   // 000000005F8C: BEFE0114
	global_atomic_add_f32 v6, v98, s[8:9] offset:8             // 000000005F90: DD348008 00086206
	global_atomic_add_f32 v6, v102, s[8:9] offset:264          // 000000005F98: DD348108 00086606
	s_mov_b64 exec, s[36:37]                                   // 000000005FA0: BEFE0124
	v_mov_b32_e32 v6, v47                                      // 000000005FA4: 7E0C032F
	s_mov_b64 s[60:61], 0                                      // 000000005FA8: BEBC0180
	v_readlane_b32 s82, v3, 6                                  // 000000005FAC: D2890052 00010D03
	s_and_b32 s82, s82, 0xffffff                               // 000000005FB4: 8652FF52 00FFFFFF
	s_cmp_lt_u32 s82, s66                                      // 000000005FBC: BF0A4252
	s_cselect_b32 s20, s36, s60                                // 000000005FC0: 85143C24
	v_readlane_b32 s82, v3, 7                                  // 000000005FC4: D2890052 00010F03
	s_and_b32 s82, s82, 0xffffff                               // 000000005FCC: 8652FF52 00FFFFFF
	s_cmp_lt_u32 s82, s66                                      // 000000005FD4: BF0A4252
	s_cselect_b32 s21, s36, s60                                // 000000005FD8: 85153C24
	s_mov_b64 exec, s[20:21]                                   // 000000005FDC: BEFE0114
	global_atomic_add_f32 v6, v99, s[8:9] offset:8             // 000000005FE0: DD348008 00086306
	global_atomic_add_f32 v6, v103, s[8:9] offset:264          // 000000005FE8: DD348108 00086706
	s_mov_b64 exec, s[36:37]                                   // 000000005FF0: BEFE0124
	v_mov_b32_e32 v6, v48                                      // 000000005FF4: 7E0C0330
	s_mov_b64 s[60:61], 0                                      // 000000005FF8: BEBC0180
	v_readlane_b32 s82, v3, 8                                  // 000000005FFC: D2890052 00011103
	s_and_b32 s82, s82, 0xffffff                               // 000000006004: 8652FF52 00FFFFFF
	s_cmp_lt_u32 s82, s66                                      // 00000000600C: BF0A4252
	s_cselect_b32 s20, s36, s60                                // 000000006010: 85143C24
	v_readlane_b32 s82, v3, 9                                  // 000000006014: D2890052 00011303
	s_and_b32 s82, s82, 0xffffff                               // 00000000601C: 8652FF52 00FFFFFF
	s_cmp_lt_u32 s82, s66                                      // 000000006024: BF0A4252
	s_cselect_b32 s21, s36, s60                                // 000000006028: 85153C24
	s_mov_b64 exec, s[20:21]                                   // 00000000602C: BEFE0114
	global_atomic_add_f32 v6, v106, s[8:9] offset:8            // 000000006030: DD348008 00086A06
	global_atomic_add_f32 v6, v110, s[8:9] offset:264          // 000000006038: DD348108 00086E06
	s_mov_b64 exec, s[36:37]                                   // 000000006040: BEFE0124
	v_mov_b32_e32 v6, v49                                      // 000000006044: 7E0C0331
	s_mov_b64 s[60:61], 0                                      // 000000006048: BEBC0180
	v_readlane_b32 s82, v3, 10                                 // 00000000604C: D2890052 00011503
	s_and_b32 s82, s82, 0xffffff                               // 000000006054: 8652FF52 00FFFFFF
	s_cmp_lt_u32 s82, s66                                      // 00000000605C: BF0A4252
	s_cselect_b32 s20, s36, s60                                // 000000006060: 85143C24
	v_readlane_b32 s82, v3, 11                                 // 000000006064: D2890052 00011703
	s_and_b32 s82, s82, 0xffffff                               // 00000000606C: 8652FF52 00FFFFFF
	s_cmp_lt_u32 s82, s66                                      // 000000006074: BF0A4252
	s_cselect_b32 s21, s36, s60                                // 000000006078: 85153C24
	s_mov_b64 exec, s[20:21]                                   // 00000000607C: BEFE0114
	global_atomic_add_f32 v6, v107, s[8:9] offset:8            // 000000006080: DD348008 00086B06
	global_atomic_add_f32 v6, v111, s[8:9] offset:264          // 000000006088: DD348108 00086F06
	s_mov_b64 exec, s[36:37]                                   // 000000006090: BEFE0124
	v_mov_b32_e32 v6, v50                                      // 000000006094: 7E0C0332
	s_mov_b64 s[60:61], 0                                      // 000000006098: BEBC0180
	v_readlane_b32 s82, v3, 12                                 // 00000000609C: D2890052 00011903
	s_and_b32 s82, s82, 0xffffff                               // 0000000060A4: 8652FF52 00FFFFFF
	s_cmp_lt_u32 s82, s66                                      // 0000000060AC: BF0A4252
	s_cselect_b32 s20, s36, s60                                // 0000000060B0: 85143C24
	v_readlane_b32 s82, v3, 13                                 // 0000000060B4: D2890052 00011B03
	s_and_b32 s82, s82, 0xffffff                               // 0000000060BC: 8652FF52 00FFFFFF
	s_cmp_lt_u32 s82, s66                                      // 0000000060C4: BF0A4252
	s_cselect_b32 s21, s36, s60                                // 0000000060C8: 85153C24
	s_mov_b64 exec, s[20:21]                                   // 0000000060CC: BEFE0114
	global_atomic_add_f32 v6, v114, s[8:9] offset:8            // 0000000060D0: DD348008 00087206
	global_atomic_add_f32 v6, v118, s[8:9] offset:264          // 0000000060D8: DD348108 00087606
	s_mov_b64 exec, s[36:37]                                   // 0000000060E0: BEFE0124
	v_mov_b32_e32 v6, v51                                      // 0000000060E4: 7E0C0333
	s_mov_b64 s[60:61], 0                                      // 0000000060E8: BEBC0180
	v_readlane_b32 s82, v3, 14                                 // 0000000060EC: D2890052 00011D03
	s_and_b32 s82, s82, 0xffffff                               // 0000000060F4: 8652FF52 00FFFFFF
	s_cmp_lt_u32 s82, s66                                      // 0000000060FC: BF0A4252
	s_cselect_b32 s20, s36, s60                                // 000000006100: 85143C24
	v_readlane_b32 s82, v3, 15                                 // 000000006104: D2890052 00011F03
	s_and_b32 s82, s82, 0xffffff                               // 00000000610C: 8652FF52 00FFFFFF
	s_cmp_lt_u32 s82, s66                                      // 000000006114: BF0A4252
	s_cselect_b32 s21, s36, s60                                // 000000006118: 85153C24
	s_mov_b64 exec, s[20:21]                                   // 00000000611C: BEFE0114
	global_atomic_add_f32 v6, v115, s[8:9] offset:8            // 000000006120: DD348008 00087306
	global_atomic_add_f32 v6, v119, s[8:9] offset:264          // 000000006128: DD348108 00087706
	s_mov_b64 exec, s[36:37]                                   // 000000006130: BEFE0124
	s_branch label_192B                                        // 000000006134: BF820B5A

0000000000006138 <label_0DD1>:
	s_waitcnt vmcnt(2) lgkmcnt(0)                              // 000000006138: BF8C0072
	s_barrier                                                  // 00000000613C: BF8A0000
	v_mfma_f32_16x16x32_fp8_fp8 v[56:59], a[64:65], a[0:1], v[56:59]// 000000006140: D3F30038 1CE20140
	buffer_load_dwordx4 a[80:83], v52, s[84:87], 0 offen       // 000000006148: E05C1000 80955034
	v_mfma_f32_16x16x32_fp8_fp8 v[56:59], a[66:67], a[2:3], v[56:59]// 000000006150: D3F30038 1CE20542
	v_mfma_f32_16x16x32_fp8_fp8 v[56:59], a[68:69], a[4:5], v[56:59]// 000000006158: D3F30038 1CE20944
	v_mfma_f32_16x16x32_fp8_fp8 v[56:59], a[70:71], a[6:7], v[56:59]// 000000006160: D3F30038 1CE20D46
	v_mfma_f32_16x16x32_fp8_fp8 v[60:63], a[64:65], a[8:9], v[60:63]// 000000006168: D3F3003C 1CF21140
	buffer_load_dwordx4 a[84:87], v52, s[84:87], 0 offen offset:1024// 000000006170: E05C1400 80955434
	v_mfma_f32_16x16x32_fp8_fp8 v[60:63], a[66:67], a[10:11], v[60:63]// 000000006178: D3F3003C 1CF21542
	v_mfma_f32_16x16x32_fp8_fp8 v[60:63], a[68:69], a[12:13], v[60:63]// 000000006180: D3F3003C 1CF21944
	v_mfma_f32_16x16x32_fp8_fp8 v[60:63], a[70:71], a[14:15], v[60:63]// 000000006188: D3F3003C 1CF21D46
	v_mfma_f32_16x16x32_fp8_fp8 v[64:67], a[64:65], a[16:17], v[64:67]// 000000006190: D3F30040 1D022140
	buffer_load_dwordx4 a[88:91], v53, s[84:87], 0 offen       // 000000006198: E05C1000 80955835
	v_mfma_f32_16x16x32_fp8_fp8 v[64:67], a[66:67], a[18:19], v[64:67]// 0000000061A0: D3F30040 1D022542
	v_mfma_f32_16x16x32_fp8_fp8 v[64:67], a[68:69], a[20:21], v[64:67]// 0000000061A8: D3F30040 1D022944
	v_mfma_f32_16x16x32_fp8_fp8 v[64:67], a[70:71], a[22:23], v[64:67]// 0000000061B0: D3F30040 1D022D46
	v_mfma_f32_16x16x32_fp8_fp8 v[68:71], a[64:65], a[24:25], v[68:71]// 0000000061B8: D3F30044 1D123140
	buffer_load_dwordx4 a[92:95], v53, s[84:87], 0 offen offset:1024// 0000000061C0: E05C1400 80955C35
	buffer_load_dword v44, s[20:23], 0 offen lds               // 0000000061C8: E0511000 8005002C
	s_add_u32 m0, 0x100, s48                                   // 0000000061D0: 807C30FF 00000100
	v_mfma_f32_16x16x32_fp8_fp8 v[68:71], a[66:67], a[26:27], v[68:71]// 0000000061D8: D3F30044 1D123542
	v_mfma_f32_16x16x32_fp8_fp8 v[68:71], a[68:69], a[28:29], v[68:71]// 0000000061E0: D3F30044 1D123944
	buffer_load_dword v45, s[20:23], 0 offen lds               // 0000000061E8: E0511000 8005002D
	s_add_u32 m0, 0x200, s48                                   // 0000000061F0: 807C30FF 00000200
	v_mfma_f32_16x16x32_fp8_fp8 v[68:71], a[70:71], a[30:31], v[68:71]// 0000000061F8: D3F30044 1D123D46
	s_waitcnt vmcnt(6)                                         // 000000006200: BF8C0F76
	v_mfma_f32_16x16x32_fp8_fp8 v[72:75], a[72:73], a[0:1], v[72:75]// 000000006204: D3F30048 1D220148
	buffer_load_dword v46, s[20:23], 0 offen lds               // 00000000620C: E0511000 8005002E
	s_add_u32 m0, 0x300, s48                                   // 000000006214: 807C30FF 00000300
	v_mfma_f32_16x16x32_fp8_fp8 v[72:75], a[74:75], a[2:3], v[72:75]// 00000000621C: D3F30048 1D22054A
	v_mfma_f32_16x16x32_fp8_fp8 v[72:75], a[76:77], a[4:5], v[72:75]// 000000006224: D3F30048 1D22094C
	buffer_load_dword v47, s[20:23], 0 offen lds               // 00000000622C: E0511000 8005002F
	s_add_u32 m0, 0x400, s48                                   // 000000006234: 807C30FF 00000400
	v_mfma_f32_16x16x32_fp8_fp8 v[72:75], a[78:79], a[6:7], v[72:75]// 00000000623C: D3F30048 1D220D4E
	v_mfma_f32_16x16x32_fp8_fp8 v[76:79], a[72:73], a[8:9], v[76:79]// 000000006244: D3F3004C 1D321148
	buffer_load_dword v48, s[20:23], 0 offen lds               // 00000000624C: E0511000 80050030
	s_add_u32 m0, 0x500, s48                                   // 000000006254: 807C30FF 00000500
	v_mfma_f32_16x16x32_fp8_fp8 v[76:79], a[74:75], a[10:11], v[76:79]// 00000000625C: D3F3004C 1D32154A
	v_mfma_f32_16x16x32_fp8_fp8 v[76:79], a[76:77], a[12:13], v[76:79]// 000000006264: D3F3004C 1D32194C
	buffer_load_dword v49, s[20:23], 0 offen lds               // 00000000626C: E0511000 80050031
	s_add_u32 m0, 0x600, s48                                   // 000000006274: 807C30FF 00000600
	v_mfma_f32_16x16x32_fp8_fp8 v[76:79], a[78:79], a[14:15], v[76:79]// 00000000627C: D3F3004C 1D321D4E
	v_mfma_f32_16x16x32_fp8_fp8 v[80:83], a[72:73], a[16:17], v[80:83]// 000000006284: D3F30050 1D422148
	buffer_load_dword v50, s[20:23], 0 offen lds               // 00000000628C: E0511000 80050032
	s_add_u32 m0, 0x700, s48                                   // 000000006294: 807C30FF 00000700
	v_mfma_f32_16x16x32_fp8_fp8 v[80:83], a[74:75], a[18:19], v[80:83]// 00000000629C: D3F30050 1D42254A
	v_mfma_f32_16x16x32_fp8_fp8 v[80:83], a[76:77], a[20:21], v[80:83]// 0000000062A4: D3F30050 1D42294C
	buffer_load_dword v51, s[20:23], 0 offen lds               // 0000000062AC: E0511000 80050033
	s_add_u32 m0, 0, s49                                       // 0000000062B4: 807C3180
	v_mfma_f32_16x16x32_fp8_fp8 v[80:83], a[78:79], a[22:23], v[80:83]// 0000000062B8: D3F30050 1D422D4E
	v_mfma_f32_16x16x32_fp8_fp8 v[84:87], a[72:73], a[24:25], v[84:87]// 0000000062C0: D3F30054 1D523148
	v_mfma_f32_16x16x32_fp8_fp8 v[84:87], a[74:75], a[26:27], v[84:87]// 0000000062C8: D3F30054 1D52354A
	s_add_u32 s60, 0x80, s80                                   // 0000000062D0: 803C50FF 00000080
	s_cmp_lt_u32 s60, s81                                      // 0000000062D8: BF0A513C
	s_cselect_b32 s83, s83, 0                                  // 0000000062DC: 85538053
	v_mfma_f32_16x16x32_fp8_fp8 v[84:87], a[76:77], a[28:29], v[84:87]// 0000000062E0: D3F30054 1D52394C
	v_mfma_f32_16x16x32_fp8_fp8 v[84:87], a[78:79], a[30:31], v[84:87]// 0000000062E8: D3F30054 1D523D4E
	s_waitcnt vmcnt(8)                                         // 0000000062F0: BF8C0F78
	v_mfma_f32_16x16x32_fp8_fp8 v[88:91], a[80:81], a[0:1], v[88:91]// 0000000062F4: D3F30058 1D620150
	buffer_load_dwordx4 a[64:67], v52, s[24:27], 0 offen       // 0000000062FC: E05C1000 80864034
	v_mfma_f32_16x16x32_fp8_fp8 v[88:91], a[82:83], a[2:3], v[88:91]// 000000006304: D3F30058 1D620552
	v_mfma_f32_16x16x32_fp8_fp8 v[88:91], a[84:85], a[4:5], v[88:91]// 00000000630C: D3F30058 1D620954
	ds_read_b128 a[32:35], v2 offset:8320                      // 000000006314: DBFE2080 20000002
	ds_read_b128 a[36:39], v2 offset:8384                      // 00000000631C: DBFE20C0 24000002
	v_mfma_f32_16x16x32_fp8_fp8 v[88:91], a[86:87], a[6:7], v[88:91]// 000000006324: D3F30058 1D620D56
	v_mfma_f32_16x16x32_fp8_fp8 v[104:107], a[88:89], a[0:1], v[104:107]// 00000000632C: D3F30068 1DA20158
	buffer_load_dwordx4 a[68:71], v52, s[24:27], 0 offen offset:1024// 000000006334: E05C1400 80864434
	v_mfma_f32_16x16x32_fp8_fp8 v[104:107], a[90:91], a[2:3], v[104:107]// 00000000633C: D3F30068 1DA2055A
	v_mfma_f32_16x16x32_fp8_fp8 v[104:107], a[92:93], a[4:5], v[104:107]// 000000006344: D3F30068 1DA2095C
	ds_read_b128 a[40:43], v2 offset:8832                      // 00000000634C: DBFE2280 28000002
	ds_read_b128 a[44:47], v2 offset:8896                      // 000000006354: DBFE22C0 2C000002
	v_mfma_f32_16x16x32_fp8_fp8 v[104:107], a[94:95], a[6:7], v[104:107]// 00000000635C: D3F30068 1DA20D5E
	v_mfma_f32_16x16x32_fp8_fp8 v[92:95], a[80:81], a[8:9], v[92:95]// 000000006364: D3F3005C 1D721150
	buffer_load_dwordx4 a[72:75], v53, s[24:27], 0 offen       // 00000000636C: E05C1000 80864835
	v_mfma_f32_16x16x32_fp8_fp8 v[92:95], a[82:83], a[10:11], v[92:95]// 000000006374: D3F3005C 1D721552
	v_mfma_f32_16x16x32_fp8_fp8 v[92:95], a[84:85], a[12:13], v[92:95]// 00000000637C: D3F3005C 1D721954
	ds_read_b128 a[48:51], v2 offset:9344                      // 000000006384: DBFE2480 30000002
	ds_read_b128 a[52:55], v2 offset:9408                      // 00000000638C: DBFE24C0 34000002
	v_mfma_f32_16x16x32_fp8_fp8 v[92:95], a[86:87], a[14:15], v[92:95]// 000000006394: D3F3005C 1D721D56
	v_mfma_f32_16x16x32_fp8_fp8 v[108:111], a[88:89], a[8:9], v[108:111]// 00000000639C: D3F3006C 1DB21158
	buffer_load_dwordx4 a[76:79], v53, s[24:27], 0 offen offset:1024// 0000000063A4: E05C1400 80864C35
	v_mfma_f32_16x16x32_fp8_fp8 v[108:111], a[90:91], a[10:11], v[108:111]// 0000000063AC: D3F3006C 1DB2155A
	v_mfma_f32_16x16x32_fp8_fp8 v[108:111], a[92:93], a[12:13], v[108:111]// 0000000063B4: D3F3006C 1DB2195C
	ds_read_b128 a[56:59], v2 offset:9856                      // 0000000063BC: DBFE2680 38000002
	ds_read_b128 a[60:63], v2 offset:9920                      // 0000000063C4: DBFE26C0 3C000002
	v_mfma_f32_16x16x32_fp8_fp8 v[108:111], a[94:95], a[14:15], v[108:111]// 0000000063CC: D3F3006C 1DB21D5E
	v_mfma_f32_16x16x32_fp8_fp8 v[96:99], a[80:81], a[16:17], v[96:99]// 0000000063D4: D3F30060 1D822150
	v_mfma_f32_16x16x32_fp8_fp8 v[96:99], a[82:83], a[18:19], v[96:99]// 0000000063DC: D3F30060 1D822552
	v_mfma_f32_16x16x32_fp8_fp8 v[96:99], a[84:85], a[20:21], v[96:99]// 0000000063E4: D3F30060 1D822954
	v_mfma_f32_16x16x32_fp8_fp8 v[96:99], a[86:87], a[22:23], v[96:99]// 0000000063EC: D3F30060 1D822D56
	v_mfma_f32_16x16x32_fp8_fp8 v[112:115], a[88:89], a[16:17], v[112:115]// 0000000063F4: D3F30070 1DC22158
	v_mfma_f32_16x16x32_fp8_fp8 v[112:115], a[90:91], a[18:19], v[112:115]// 0000000063FC: D3F30070 1DC2255A
	v_mfma_f32_16x16x32_fp8_fp8 v[112:115], a[92:93], a[20:21], v[112:115]// 000000006404: D3F30070 1DC2295C
	v_mfma_f32_16x16x32_fp8_fp8 v[112:115], a[94:95], a[22:23], v[112:115]// 00000000640C: D3F30070 1DC22D5E
	v_mfma_f32_16x16x32_fp8_fp8 v[100:103], a[80:81], a[24:25], v[100:103]// 000000006414: D3F30064 1D923150
	v_mfma_f32_16x16x32_fp8_fp8 v[100:103], a[82:83], a[26:27], v[100:103]// 00000000641C: D3F30064 1D923552
	v_mfma_f32_16x16x32_fp8_fp8 v[100:103], a[84:85], a[28:29], v[100:103]// 000000006424: D3F30064 1D923954
	s_add_u32 s60, 0x180, s80                                  // 00000000642C: 803C50FF 00000180
	s_cmp_lt_u32 s60, s81                                      // 000000006434: BF0A513C
	s_cselect_b32 s57, s57, 0                                  // 000000006438: 85398039
	v_mfma_f32_16x16x32_fp8_fp8 v[100:103], a[86:87], a[30:31], v[100:103]// 00000000643C: D3F30064 1D923D56
	s_add_u32 s60, 0x100, s80                                  // 000000006444: 803C50FF 00000100
	s_cmp_lt_u32 s60, s81                                      // 00000000644C: BF0A513C
	s_cselect_b32 s58, s58, 0                                  // 000000006450: 853A803A
	v_mfma_f32_16x16x32_fp8_fp8 v[116:119], a[88:89], a[24:25], v[116:119]// 000000006454: D3F30074 1DD23158
	s_add_u32 s24, s58, s24                                    // 00000000645C: 8018183A
	s_addc_u32 s25, 0, s25                                     // 000000006460: 82191980
	v_mfma_f32_16x16x32_fp8_fp8 v[116:119], a[90:91], a[26:27], v[116:119]// 000000006464: D3F30074 1DD2355A
	s_add_u32 s20, s57, s20                                    // 00000000646C: 80141439
	s_addc_u32 s21, 0, s21                                     // 000000006470: 82151580
	v_mfma_f32_16x16x32_fp8_fp8 v[116:119], a[92:93], a[28:29], v[116:119]// 000000006474: D3F30074 1DD2395C
	s_add_u32 s84, s83, s84                                    // 00000000647C: 80545453
	s_addc_u32 s85, 0, s85                                     // 000000006480: 82555580
	v_mfma_f32_16x16x32_fp8_fp8 v[116:119], a[94:95], a[30:31], v[116:119]// 000000006484: D3F30074 1DD23D5E
	s_addk_i32 s80, 0x80                                       // 00000000648C: B7500080
	s_cmp_lt_i32 s80, s81                                      // 000000006490: BF045150
	s_cbranch_scc0 label_0F82                                  // 000000006494: BF8400D9
	s_waitcnt vmcnt(2) lgkmcnt(0)                              // 000000006498: BF8C0072
	s_barrier                                                  // 00000000649C: BF8A0000
	v_mfma_f32_16x16x32_fp8_fp8 v[56:59], a[64:65], a[32:33], v[56:59]// 0000000064A0: D3F30038 1CE24140
	buffer_load_dwordx4 a[80:83], v52, s[84:87], 0 offen       // 0000000064A8: E05C1000 80955034
	v_mfma_f32_16x16x32_fp8_fp8 v[56:59], a[66:67], a[34:35], v[56:59]// 0000000064B0: D3F30038 1CE24542
	v_mfma_f32_16x16x32_fp8_fp8 v[56:59], a[68:69], a[36:37], v[56:59]// 0000000064B8: D3F30038 1CE24944
	v_mfma_f32_16x16x32_fp8_fp8 v[56:59], a[70:71], a[38:39], v[56:59]// 0000000064C0: D3F30038 1CE24D46
	v_mfma_f32_16x16x32_fp8_fp8 v[60:63], a[64:65], a[40:41], v[60:63]// 0000000064C8: D3F3003C 1CF25140
	buffer_load_dwordx4 a[84:87], v52, s[84:87], 0 offen offset:1024// 0000000064D0: E05C1400 80955434
	v_mfma_f32_16x16x32_fp8_fp8 v[60:63], a[66:67], a[42:43], v[60:63]// 0000000064D8: D3F3003C 1CF25542
	v_mfma_f32_16x16x32_fp8_fp8 v[60:63], a[68:69], a[44:45], v[60:63]// 0000000064E0: D3F3003C 1CF25944
	v_mfma_f32_16x16x32_fp8_fp8 v[60:63], a[70:71], a[46:47], v[60:63]// 0000000064E8: D3F3003C 1CF25D46
	v_mfma_f32_16x16x32_fp8_fp8 v[64:67], a[64:65], a[48:49], v[64:67]// 0000000064F0: D3F30040 1D026140
	buffer_load_dwordx4 a[88:91], v53, s[84:87], 0 offen       // 0000000064F8: E05C1000 80955835
	v_mfma_f32_16x16x32_fp8_fp8 v[64:67], a[66:67], a[50:51], v[64:67]// 000000006500: D3F30040 1D026542
	v_mfma_f32_16x16x32_fp8_fp8 v[64:67], a[68:69], a[52:53], v[64:67]// 000000006508: D3F30040 1D026944
	v_mfma_f32_16x16x32_fp8_fp8 v[64:67], a[70:71], a[54:55], v[64:67]// 000000006510: D3F30040 1D026D46
	v_mfma_f32_16x16x32_fp8_fp8 v[68:71], a[64:65], a[56:57], v[68:71]// 000000006518: D3F30044 1D127140
	buffer_load_dwordx4 a[92:95], v53, s[84:87], 0 offen offset:1024// 000000006520: E05C1400 80955C35
	buffer_load_dword v44, s[20:23], 0 offen lds               // 000000006528: E0511000 8005002C
	s_add_u32 m0, 0x100, s49                                   // 000000006530: 807C31FF 00000100
	v_mfma_f32_16x16x32_fp8_fp8 v[68:71], a[66:67], a[58:59], v[68:71]// 000000006538: D3F30044 1D127542
	v_mfma_f32_16x16x32_fp8_fp8 v[68:71], a[68:69], a[60:61], v[68:71]// 000000006540: D3F30044 1D127944
	buffer_load_dword v45, s[20:23], 0 offen lds               // 000000006548: E0511000 8005002D
	s_add_u32 m0, 0x200, s49                                   // 000000006550: 807C31FF 00000200
	v_mfma_f32_16x16x32_fp8_fp8 v[68:71], a[70:71], a[62:63], v[68:71]// 000000006558: D3F30044 1D127D46
	s_waitcnt vmcnt(6)                                         // 000000006560: BF8C0F76
	v_mfma_f32_16x16x32_fp8_fp8 v[72:75], a[72:73], a[32:33], v[72:75]// 000000006564: D3F30048 1D224148
	buffer_load_dword v46, s[20:23], 0 offen lds               // 00000000656C: E0511000 8005002E
	s_add_u32 m0, 0x300, s49                                   // 000000006574: 807C31FF 00000300
	v_mfma_f32_16x16x32_fp8_fp8 v[72:75], a[74:75], a[34:35], v[72:75]// 00000000657C: D3F30048 1D22454A
	v_mfma_f32_16x16x32_fp8_fp8 v[72:75], a[76:77], a[36:37], v[72:75]// 000000006584: D3F30048 1D22494C
	buffer_load_dword v47, s[20:23], 0 offen lds               // 00000000658C: E0511000 8005002F
	s_add_u32 m0, 0x400, s49                                   // 000000006594: 807C31FF 00000400
	v_mfma_f32_16x16x32_fp8_fp8 v[72:75], a[78:79], a[38:39], v[72:75]// 00000000659C: D3F30048 1D224D4E
	v_mfma_f32_16x16x32_fp8_fp8 v[76:79], a[72:73], a[40:41], v[76:79]// 0000000065A4: D3F3004C 1D325148
	buffer_load_dword v48, s[20:23], 0 offen lds               // 0000000065AC: E0511000 80050030
	s_add_u32 m0, 0x500, s49                                   // 0000000065B4: 807C31FF 00000500
	v_mfma_f32_16x16x32_fp8_fp8 v[76:79], a[74:75], a[42:43], v[76:79]// 0000000065BC: D3F3004C 1D32554A
	v_mfma_f32_16x16x32_fp8_fp8 v[76:79], a[76:77], a[44:45], v[76:79]// 0000000065C4: D3F3004C 1D32594C
	buffer_load_dword v49, s[20:23], 0 offen lds               // 0000000065CC: E0511000 80050031
	s_add_u32 m0, 0x600, s49                                   // 0000000065D4: 807C31FF 00000600
	v_mfma_f32_16x16x32_fp8_fp8 v[76:79], a[78:79], a[46:47], v[76:79]// 0000000065DC: D3F3004C 1D325D4E
	v_mfma_f32_16x16x32_fp8_fp8 v[80:83], a[72:73], a[48:49], v[80:83]// 0000000065E4: D3F30050 1D426148
	buffer_load_dword v50, s[20:23], 0 offen lds               // 0000000065EC: E0511000 80050032
	s_add_u32 m0, 0x700, s49                                   // 0000000065F4: 807C31FF 00000700
	v_mfma_f32_16x16x32_fp8_fp8 v[80:83], a[74:75], a[50:51], v[80:83]// 0000000065FC: D3F30050 1D42654A
	v_mfma_f32_16x16x32_fp8_fp8 v[80:83], a[76:77], a[52:53], v[80:83]// 000000006604: D3F30050 1D42694C
	buffer_load_dword v51, s[20:23], 0 offen lds               // 00000000660C: E0511000 80050033
	s_add_u32 m0, 0, s48                                       // 000000006614: 807C3080
	v_mfma_f32_16x16x32_fp8_fp8 v[80:83], a[78:79], a[54:55], v[80:83]// 000000006618: D3F30050 1D426D4E
	v_mfma_f32_16x16x32_fp8_fp8 v[84:87], a[72:73], a[56:57], v[84:87]// 000000006620: D3F30054 1D527148
	v_mfma_f32_16x16x32_fp8_fp8 v[84:87], a[74:75], a[58:59], v[84:87]// 000000006628: D3F30054 1D52754A
	s_add_u32 s60, 0x80, s80                                   // 000000006630: 803C50FF 00000080
	s_cmp_lt_u32 s60, s81                                      // 000000006638: BF0A513C
	s_cselect_b32 s83, s83, 0                                  // 00000000663C: 85538053
	v_mfma_f32_16x16x32_fp8_fp8 v[84:87], a[76:77], a[60:61], v[84:87]// 000000006640: D3F30054 1D52794C
	v_mfma_f32_16x16x32_fp8_fp8 v[84:87], a[78:79], a[62:63], v[84:87]// 000000006648: D3F30054 1D527D4E
	s_waitcnt vmcnt(8)                                         // 000000006650: BF8C0F78
	v_mfma_f32_16x16x32_fp8_fp8 v[88:91], a[80:81], a[32:33], v[88:91]// 000000006654: D3F30058 1D624150
	buffer_load_dwordx4 a[64:67], v52, s[24:27], 0 offen       // 00000000665C: E05C1000 80864034
	v_mfma_f32_16x16x32_fp8_fp8 v[88:91], a[82:83], a[34:35], v[88:91]// 000000006664: D3F30058 1D624552
	v_mfma_f32_16x16x32_fp8_fp8 v[88:91], a[84:85], a[36:37], v[88:91]// 00000000666C: D3F30058 1D624954
	ds_read_b128 a[0:3], v2                                    // 000000006674: DBFE0000 00000002
	ds_read_b128 a[4:7], v2 offset:64                          // 00000000667C: DBFE0040 04000002
	v_mfma_f32_16x16x32_fp8_fp8 v[88:91], a[86:87], a[38:39], v[88:91]// 000000006684: D3F30058 1D624D56
	v_mfma_f32_16x16x32_fp8_fp8 v[104:107], a[88:89], a[32:33], v[104:107]// 00000000668C: D3F30068 1DA24158
	buffer_load_dwordx4 a[68:71], v52, s[24:27], 0 offen offset:1024// 000000006694: E05C1400 80864434
	v_mfma_f32_16x16x32_fp8_fp8 v[104:107], a[90:91], a[34:35], v[104:107]// 00000000669C: D3F30068 1DA2455A
	v_mfma_f32_16x16x32_fp8_fp8 v[104:107], a[92:93], a[36:37], v[104:107]// 0000000066A4: D3F30068 1DA2495C
	ds_read_b128 a[8:11], v2 offset:512                        // 0000000066AC: DBFE0200 08000002
	ds_read_b128 a[12:15], v2 offset:576                       // 0000000066B4: DBFE0240 0C000002
	v_mfma_f32_16x16x32_fp8_fp8 v[104:107], a[94:95], a[38:39], v[104:107]// 0000000066BC: D3F30068 1DA24D5E
	v_mfma_f32_16x16x32_fp8_fp8 v[92:95], a[80:81], a[40:41], v[92:95]// 0000000066C4: D3F3005C 1D725150
	buffer_load_dwordx4 a[72:75], v53, s[24:27], 0 offen       // 0000000066CC: E05C1000 80864835
	v_mfma_f32_16x16x32_fp8_fp8 v[92:95], a[82:83], a[42:43], v[92:95]// 0000000066D4: D3F3005C 1D725552
	v_mfma_f32_16x16x32_fp8_fp8 v[92:95], a[84:85], a[44:45], v[92:95]// 0000000066DC: D3F3005C 1D725954
	ds_read_b128 a[16:19], v2 offset:1024                      // 0000000066E4: DBFE0400 10000002
	ds_read_b128 a[20:23], v2 offset:1088                      // 0000000066EC: DBFE0440 14000002
	v_mfma_f32_16x16x32_fp8_fp8 v[92:95], a[86:87], a[46:47], v[92:95]// 0000000066F4: D3F3005C 1D725D56
	v_mfma_f32_16x16x32_fp8_fp8 v[108:111], a[88:89], a[40:41], v[108:111]// 0000000066FC: D3F3006C 1DB25158
	buffer_load_dwordx4 a[76:79], v53, s[24:27], 0 offen offset:1024// 000000006704: E05C1400 80864C35
	v_mfma_f32_16x16x32_fp8_fp8 v[108:111], a[90:91], a[42:43], v[108:111]// 00000000670C: D3F3006C 1DB2555A
	v_mfma_f32_16x16x32_fp8_fp8 v[108:111], a[92:93], a[44:45], v[108:111]// 000000006714: D3F3006C 1DB2595C
	ds_read_b128 a[24:27], v2 offset:1536                      // 00000000671C: DBFE0600 18000002
	ds_read_b128 a[28:31], v2 offset:1600                      // 000000006724: DBFE0640 1C000002
	v_mfma_f32_16x16x32_fp8_fp8 v[108:111], a[94:95], a[46:47], v[108:111]// 00000000672C: D3F3006C 1DB25D5E
	v_mfma_f32_16x16x32_fp8_fp8 v[96:99], a[80:81], a[48:49], v[96:99]// 000000006734: D3F30060 1D826150
	v_mfma_f32_16x16x32_fp8_fp8 v[96:99], a[82:83], a[50:51], v[96:99]// 00000000673C: D3F30060 1D826552
	v_mfma_f32_16x16x32_fp8_fp8 v[96:99], a[84:85], a[52:53], v[96:99]// 000000006744: D3F30060 1D826954
	v_mfma_f32_16x16x32_fp8_fp8 v[96:99], a[86:87], a[54:55], v[96:99]// 00000000674C: D3F30060 1D826D56
	v_mfma_f32_16x16x32_fp8_fp8 v[112:115], a[88:89], a[48:49], v[112:115]// 000000006754: D3F30070 1DC26158
	v_mfma_f32_16x16x32_fp8_fp8 v[112:115], a[90:91], a[50:51], v[112:115]// 00000000675C: D3F30070 1DC2655A
	v_mfma_f32_16x16x32_fp8_fp8 v[112:115], a[92:93], a[52:53], v[112:115]// 000000006764: D3F30070 1DC2695C
	v_mfma_f32_16x16x32_fp8_fp8 v[112:115], a[94:95], a[54:55], v[112:115]// 00000000676C: D3F30070 1DC26D5E
	v_mfma_f32_16x16x32_fp8_fp8 v[100:103], a[80:81], a[56:57], v[100:103]// 000000006774: D3F30064 1D927150
	v_mfma_f32_16x16x32_fp8_fp8 v[100:103], a[82:83], a[58:59], v[100:103]// 00000000677C: D3F30064 1D927552
	v_mfma_f32_16x16x32_fp8_fp8 v[100:103], a[84:85], a[60:61], v[100:103]// 000000006784: D3F30064 1D927954
	s_add_u32 s60, 0x180, s80                                  // 00000000678C: 803C50FF 00000180
	s_cmp_lt_u32 s60, s81                                      // 000000006794: BF0A513C
	s_cselect_b32 s57, s57, 0                                  // 000000006798: 85398039
	v_mfma_f32_16x16x32_fp8_fp8 v[100:103], a[86:87], a[62:63], v[100:103]// 00000000679C: D3F30064 1D927D56
	s_add_u32 s60, 0x100, s80                                  // 0000000067A4: 803C50FF 00000100
	s_cmp_lt_u32 s60, s81                                      // 0000000067AC: BF0A513C
	s_cselect_b32 s58, s58, 0                                  // 0000000067B0: 853A803A
	v_mfma_f32_16x16x32_fp8_fp8 v[116:119], a[88:89], a[56:57], v[116:119]// 0000000067B4: D3F30074 1DD27158
	s_add_u32 s24, s58, s24                                    // 0000000067BC: 8018183A
	s_addc_u32 s25, 0, s25                                     // 0000000067C0: 82191980
	v_mfma_f32_16x16x32_fp8_fp8 v[116:119], a[90:91], a[58:59], v[116:119]// 0000000067C4: D3F30074 1DD2755A
	s_add_u32 s20, s57, s20                                    // 0000000067CC: 80141439
	s_addc_u32 s21, 0, s21                                     // 0000000067D0: 82151580
	v_mfma_f32_16x16x32_fp8_fp8 v[116:119], a[92:93], a[60:61], v[116:119]// 0000000067D4: D3F30074 1DD2795C
	s_add_u32 s84, s83, s84                                    // 0000000067DC: 80545453
	s_addc_u32 s85, 0, s85                                     // 0000000067E0: 82555580
	v_mfma_f32_16x16x32_fp8_fp8 v[116:119], a[94:95], a[62:63], v[116:119]// 0000000067E4: D3F30074 1DD27D5E
	s_addk_i32 s80, 0x80                                       // 0000000067EC: B7500080
	s_cmp_lt_i32 s80, s81                                      // 0000000067F0: BF045150
	s_cbranch_scc0 label_0F82                                  // 0000000067F4: BF840001
	s_branch label_0DD1                                        // 0000000067F8: BF82FE4F

00000000000067fc <label_0F82>:
	v_mul_f32_dpp v56, v24, v56 row_newbcast:0 row_mask:0xf bank_mask:0xf// 0000000067FC: 0A7070FA FF015018
	v_mul_f32_dpp v57, v24, v57 row_newbcast:1 row_mask:0xf bank_mask:0xf// 000000006804: 0A7272FA FF015118
	v_mul_f32_dpp v58, v24, v58 row_newbcast:2 row_mask:0xf bank_mask:0xf// 00000000680C: 0A7474FA FF015218
	v_mul_f32_dpp v59, v24, v59 row_newbcast:3 row_mask:0xf bank_mask:0xf// 000000006814: 0A7676FA FF015318
	v_mul_f32_dpp v60, v24, v60 row_newbcast:0 row_mask:0xf bank_mask:0xf// 00000000681C: 0A7878FA FF015018
	v_mul_f32_dpp v61, v24, v61 row_newbcast:1 row_mask:0xf bank_mask:0xf// 000000006824: 0A7A7AFA FF015118
	v_mul_f32_dpp v62, v24, v62 row_newbcast:2 row_mask:0xf bank_mask:0xf// 00000000682C: 0A7C7CFA FF015218
	v_mul_f32_dpp v63, v24, v63 row_newbcast:3 row_mask:0xf bank_mask:0xf// 000000006834: 0A7E7EFA FF015318
	v_mul_f32_dpp v64, v24, v64 row_newbcast:0 row_mask:0xf bank_mask:0xf// 00000000683C: 0A8080FA FF015018
	v_mul_f32_dpp v65, v24, v65 row_newbcast:1 row_mask:0xf bank_mask:0xf// 000000006844: 0A8282FA FF015118
	v_mul_f32_dpp v66, v24, v66 row_newbcast:2 row_mask:0xf bank_mask:0xf// 00000000684C: 0A8484FA FF015218
	v_mul_f32_dpp v67, v24, v67 row_newbcast:3 row_mask:0xf bank_mask:0xf// 000000006854: 0A8686FA FF015318
	v_mul_f32_dpp v68, v24, v68 row_newbcast:0 row_mask:0xf bank_mask:0xf// 00000000685C: 0A8888FA FF015018
	v_mul_f32_dpp v69, v24, v69 row_newbcast:1 row_mask:0xf bank_mask:0xf// 000000006864: 0A8A8AFA FF015118
	v_mul_f32_dpp v70, v24, v70 row_newbcast:2 row_mask:0xf bank_mask:0xf// 00000000686C: 0A8C8CFA FF015218
	v_mul_f32_dpp v71, v24, v71 row_newbcast:3 row_mask:0xf bank_mask:0xf// 000000006874: 0A8E8EFA FF015318
	v_mul_f32_dpp v72, v24, v72 row_newbcast:4 row_mask:0xf bank_mask:0xf// 00000000687C: 0A9090FA FF015418
	v_mul_f32_dpp v73, v24, v73 row_newbcast:5 row_mask:0xf bank_mask:0xf// 000000006884: 0A9292FA FF015518
	v_mul_f32_dpp v74, v24, v74 row_newbcast:6 row_mask:0xf bank_mask:0xf// 00000000688C: 0A9494FA FF015618
	v_mul_f32_dpp v75, v24, v75 row_newbcast:7 row_mask:0xf bank_mask:0xf// 000000006894: 0A9696FA FF015718
	v_mul_f32_dpp v76, v24, v76 row_newbcast:4 row_mask:0xf bank_mask:0xf// 00000000689C: 0A9898FA FF015418
	v_mul_f32_dpp v77, v24, v77 row_newbcast:5 row_mask:0xf bank_mask:0xf// 0000000068A4: 0A9A9AFA FF015518
	v_mul_f32_dpp v78, v24, v78 row_newbcast:6 row_mask:0xf bank_mask:0xf// 0000000068AC: 0A9C9CFA FF015618
	v_mul_f32_dpp v79, v24, v79 row_newbcast:7 row_mask:0xf bank_mask:0xf// 0000000068B4: 0A9E9EFA FF015718
	v_mul_f32_dpp v80, v24, v80 row_newbcast:4 row_mask:0xf bank_mask:0xf// 0000000068BC: 0AA0A0FA FF015418
	v_mul_f32_dpp v81, v24, v81 row_newbcast:5 row_mask:0xf bank_mask:0xf// 0000000068C4: 0AA2A2FA FF015518
	v_mul_f32_dpp v82, v24, v82 row_newbcast:6 row_mask:0xf bank_mask:0xf// 0000000068CC: 0AA4A4FA FF015618
	v_mul_f32_dpp v83, v24, v83 row_newbcast:7 row_mask:0xf bank_mask:0xf// 0000000068D4: 0AA6A6FA FF015718
	v_mul_f32_dpp v84, v24, v84 row_newbcast:4 row_mask:0xf bank_mask:0xf// 0000000068DC: 0AA8A8FA FF015418
	v_mul_f32_dpp v85, v24, v85 row_newbcast:5 row_mask:0xf bank_mask:0xf// 0000000068E4: 0AAAAAFA FF015518
	v_mul_f32_dpp v86, v24, v86 row_newbcast:6 row_mask:0xf bank_mask:0xf// 0000000068EC: 0AACACFA FF015618
	v_mul_f32_dpp v87, v24, v87 row_newbcast:7 row_mask:0xf bank_mask:0xf// 0000000068F4: 0AAEAEFA FF015718
	v_mul_f32_dpp v88, v26, v88 row_newbcast:0 row_mask:0xf bank_mask:0xf// 0000000068FC: 0AB0B0FA FF01501A
	v_mul_f32_dpp v89, v26, v89 row_newbcast:1 row_mask:0xf bank_mask:0xf// 000000006904: 0AB2B2FA FF01511A
	v_mul_f32_dpp v90, v26, v90 row_newbcast:2 row_mask:0xf bank_mask:0xf// 00000000690C: 0AB4B4FA FF01521A
	v_mul_f32_dpp v91, v26, v91 row_newbcast:3 row_mask:0xf bank_mask:0xf// 000000006914: 0AB6B6FA FF01531A
	v_mul_f32_dpp v92, v26, v92 row_newbcast:0 row_mask:0xf bank_mask:0xf// 00000000691C: 0AB8B8FA FF01501A
	v_mul_f32_dpp v93, v26, v93 row_newbcast:1 row_mask:0xf bank_mask:0xf// 000000006924: 0ABABAFA FF01511A
	v_mul_f32_dpp v94, v26, v94 row_newbcast:2 row_mask:0xf bank_mask:0xf// 00000000692C: 0ABCBCFA FF01521A
	v_mul_f32_dpp v95, v26, v95 row_newbcast:3 row_mask:0xf bank_mask:0xf// 000000006934: 0ABEBEFA FF01531A
	v_mul_f32_dpp v96, v26, v96 row_newbcast:0 row_mask:0xf bank_mask:0xf// 00000000693C: 0AC0C0FA FF01501A
	v_mul_f32_dpp v97, v26, v97 row_newbcast:1 row_mask:0xf bank_mask:0xf// 000000006944: 0AC2C2FA FF01511A
	v_mul_f32_dpp v98, v26, v98 row_newbcast:2 row_mask:0xf bank_mask:0xf// 00000000694C: 0AC4C4FA FF01521A
	v_mul_f32_dpp v99, v26, v99 row_newbcast:3 row_mask:0xf bank_mask:0xf// 000000006954: 0AC6C6FA FF01531A
	v_mul_f32_dpp v100, v26, v100 row_newbcast:0 row_mask:0xf bank_mask:0xf// 00000000695C: 0AC8C8FA FF01501A
	v_mul_f32_dpp v101, v26, v101 row_newbcast:1 row_mask:0xf bank_mask:0xf// 000000006964: 0ACACAFA FF01511A
	v_mul_f32_dpp v102, v26, v102 row_newbcast:2 row_mask:0xf bank_mask:0xf// 00000000696C: 0ACCCCFA FF01521A
	v_mul_f32_dpp v103, v26, v103 row_newbcast:3 row_mask:0xf bank_mask:0xf// 000000006974: 0ACECEFA FF01531A
	v_mul_f32_dpp v104, v26, v104 row_newbcast:4 row_mask:0xf bank_mask:0xf// 00000000697C: 0AD0D0FA FF01541A
	v_mul_f32_dpp v105, v26, v105 row_newbcast:5 row_mask:0xf bank_mask:0xf// 000000006984: 0AD2D2FA FF01551A
	v_mul_f32_dpp v106, v26, v106 row_newbcast:6 row_mask:0xf bank_mask:0xf// 00000000698C: 0AD4D4FA FF01561A
	v_mul_f32_dpp v107, v26, v107 row_newbcast:7 row_mask:0xf bank_mask:0xf// 000000006994: 0AD6D6FA FF01571A
	v_mul_f32_dpp v108, v26, v108 row_newbcast:4 row_mask:0xf bank_mask:0xf// 00000000699C: 0AD8D8FA FF01541A
	v_mul_f32_dpp v109, v26, v109 row_newbcast:5 row_mask:0xf bank_mask:0xf// 0000000069A4: 0ADADAFA FF01551A
	v_mul_f32_dpp v110, v26, v110 row_newbcast:6 row_mask:0xf bank_mask:0xf// 0000000069AC: 0ADCDCFA FF01561A
	v_mul_f32_dpp v111, v26, v111 row_newbcast:7 row_mask:0xf bank_mask:0xf// 0000000069B4: 0ADEDEFA FF01571A
	v_mul_f32_dpp v112, v26, v112 row_newbcast:4 row_mask:0xf bank_mask:0xf// 0000000069BC: 0AE0E0FA FF01541A
	v_mul_f32_dpp v113, v26, v113 row_newbcast:5 row_mask:0xf bank_mask:0xf// 0000000069C4: 0AE2E2FA FF01551A
	v_mul_f32_dpp v114, v26, v114 row_newbcast:6 row_mask:0xf bank_mask:0xf// 0000000069CC: 0AE4E4FA FF01561A
	v_mul_f32_dpp v115, v26, v115 row_newbcast:7 row_mask:0xf bank_mask:0xf// 0000000069D4: 0AE6E6FA FF01571A
	v_mul_f32_dpp v116, v26, v116 row_newbcast:4 row_mask:0xf bank_mask:0xf// 0000000069DC: 0AE8E8FA FF01541A
	v_mul_f32_dpp v117, v26, v117 row_newbcast:5 row_mask:0xf bank_mask:0xf// 0000000069E4: 0AEAEAFA FF01551A
	v_mul_f32_dpp v118, v26, v118 row_newbcast:6 row_mask:0xf bank_mask:0xf// 0000000069EC: 0AECECFA FF01561A
	v_mul_f32_dpp v119, v26, v119 row_newbcast:7 row_mask:0xf bank_mask:0xf// 0000000069F4: 0AEEEEFA FF01571A
	v_mul_f32_e32 v32, v32, v120                               // 0000000069FC: 0A40F120
	v_mov_b32_e32 v4, v32                                      // 000000006A00: 7E080320
	v_mov_b32_e32 v5, v4                                       // 000000006A04: 7E0A0304
	v_pk_mul_f32 v[56:57], v[4:5], v[56:57]                    // 000000006A08: D3B14038 18027104
	v_pk_mul_f32 v[88:89], v[4:5], v[88:89]                    // 000000006A10: D3B14058 1802B104
	v_pk_mul_f32 v[58:59], v[4:5], v[58:59]                    // 000000006A18: D3B1403A 18027504
	v_pk_mul_f32 v[90:91], v[4:5], v[90:91]                    // 000000006A20: D3B1405A 1802B504
	v_pk_mul_f32 v[72:73], v[4:5], v[72:73]                    // 000000006A28: D3B14048 18029104
	v_pk_mul_f32 v[104:105], v[4:5], v[104:105]                // 000000006A30: D3B14068 1802D104
	v_pk_mul_f32 v[74:75], v[4:5], v[74:75]                    // 000000006A38: D3B1404A 18029504
	v_pk_mul_f32 v[106:107], v[4:5], v[106:107]                // 000000006A40: D3B1406A 1802D504
	v_mul_f32_e32 v33, v33, v121                               // 000000006A48: 0A42F321
	v_mov_b32_e32 v4, v33                                      // 000000006A4C: 7E080321
	v_mov_b32_e32 v5, v4                                       // 000000006A50: 7E0A0304
	v_pk_mul_f32 v[60:61], v[4:5], v[60:61]                    // 000000006A54: D3B1403C 18027904
	v_pk_mul_f32 v[92:93], v[4:5], v[92:93]                    // 000000006A5C: D3B1405C 1802B904
	v_pk_mul_f32 v[62:63], v[4:5], v[62:63]                    // 000000006A64: D3B1403E 18027D04
	v_pk_mul_f32 v[94:95], v[4:5], v[94:95]                    // 000000006A6C: D3B1405E 1802BD04
	v_pk_mul_f32 v[76:77], v[4:5], v[76:77]                    // 000000006A74: D3B1404C 18029904
	v_pk_mul_f32 v[108:109], v[4:5], v[108:109]                // 000000006A7C: D3B1406C 1802D904
	v_pk_mul_f32 v[78:79], v[4:5], v[78:79]                    // 000000006A84: D3B1404E 18029D04
	v_pk_mul_f32 v[110:111], v[4:5], v[110:111]                // 000000006A8C: D3B1406E 1802DD04
	v_mul_f32_e32 v34, v34, v122                               // 000000006A94: 0A44F522
	v_mov_b32_e32 v4, v34                                      // 000000006A98: 7E080322
	v_mov_b32_e32 v5, v4                                       // 000000006A9C: 7E0A0304
	v_pk_mul_f32 v[64:65], v[4:5], v[64:65]                    // 000000006AA0: D3B14040 18028104
	v_pk_mul_f32 v[96:97], v[4:5], v[96:97]                    // 000000006AA8: D3B14060 1802C104
	v_pk_mul_f32 v[66:67], v[4:5], v[66:67]                    // 000000006AB0: D3B14042 18028504
	v_pk_mul_f32 v[98:99], v[4:5], v[98:99]                    // 000000006AB8: D3B14062 1802C504
	v_pk_mul_f32 v[80:81], v[4:5], v[80:81]                    // 000000006AC0: D3B14050 1802A104
	v_pk_mul_f32 v[112:113], v[4:5], v[112:113]                // 000000006AC8: D3B14070 1802E104
	v_pk_mul_f32 v[82:83], v[4:5], v[82:83]                    // 000000006AD0: D3B14052 1802A504
	v_pk_mul_f32 v[114:115], v[4:5], v[114:115]                // 000000006AD8: D3B14072 1802E504
	v_mul_f32_e32 v35, v35, v123                               // 000000006AE0: 0A46F723
	v_mov_b32_e32 v4, v35                                      // 000000006AE4: 7E080323
	v_mov_b32_e32 v5, v4                                       // 000000006AE8: 7E0A0304
	v_pk_mul_f32 v[68:69], v[4:5], v[68:69]                    // 000000006AEC: D3B14044 18028904
	v_pk_mul_f32 v[100:101], v[4:5], v[100:101]                // 000000006AF4: D3B14064 1802C904
	v_pk_mul_f32 v[70:71], v[4:5], v[70:71]                    // 000000006AFC: D3B14046 18028D04
	v_pk_mul_f32 v[102:103], v[4:5], v[102:103]                // 000000006B04: D3B14066 1802CD04
	v_pk_mul_f32 v[84:85], v[4:5], v[84:85]                    // 000000006B0C: D3B14054 1802A904
	v_pk_mul_f32 v[116:117], v[4:5], v[116:117]                // 000000006B14: D3B14074 1802E904
	v_pk_mul_f32 v[86:87], v[4:5], v[86:87]                    // 000000006B1C: D3B14056 1802AD04
	v_pk_mul_f32 v[118:119], v[4:5], v[118:119]                // 000000006B24: D3B14076 1802ED04
	s_cmp_eq_u32 s88, 0                                        // 000000006B2C: BF068058
	s_cbranch_scc0 label_1511                                  // 000000006B30: BF8404C1
	s_cmp_eq_u32 s89, 0                                        // 000000006B34: BF068059
	s_cbranch_scc1 label_1197                                  // 000000006B38: BF850145
	v_mov_b32_e32 v8, v1                                       // 000000006B3C: 7E100301
	v_mov_b32_e32 v9, v1                                       // 000000006B40: 7E120301
	s_mov_b32 s60, s6                                          // 000000006B44: BEBC0006
	s_mov_b32 s61, s6                                          // 000000006B48: BEBD0006
	v_pk_mul_f32 v[4:5], v[56:57], v[56:57]                    // 000000006B4C: D3B14004 18027138
	v_pk_mul_f32 v[6:7], v[58:59], v[58:59]                    // 000000006B54: D3B14006 1802753A
	v_pk_fma_f32 v[4:5], v[4:5], s[78:79], v[8:9]              // 000000006B5C: D3B04004 1C209D04
	v_pk_fma_f32 v[6:7], v[6:7], s[78:79], v[8:9]              // 000000006B64: D3B04006 1C209D06
	v_pk_mul_f32 v[4:5], v[4:5], v[56:57]                      // 000000006B6C: D3B14004 18027104
	v_pk_mul_f32 v[6:7], v[6:7], v[58:59]                      // 000000006B74: D3B14006 18027506
	v_pk_mul_f32 v[4:5], v[4:5], s[60:61]                      // 000000006B7C: D3B14004 18007904
	v_pk_mul_f32 v[6:7], v[6:7], s[60:61]                      // 000000006B84: D3B14006 18007906
	v_exp_f32_e32 v4, v4                                       // 000000006B8C: 7E084104
	v_exp_f32_e32 v5, v5                                       // 000000006B90: 7E0A4105
	v_exp_f32_e32 v6, v6                                       // 000000006B94: 7E0C4106
	v_exp_f32_e32 v7, v7                                       // 000000006B98: 7E0E4107
	v_add_f32_e64 v4, v4, 1.0                                  // 000000006B9C: D1010004 0001E504
	v_add_f32_e64 v5, v5, 1.0                                  // 000000006BA4: D1010005 0001E505
	v_add_f32_e64 v6, v6, 1.0                                  // 000000006BAC: D1010006 0001E506
	v_add_f32_e64 v7, v7, 1.0                                  // 000000006BB4: D1010007 0001E507
	v_rcp_f32_e32 v4, v4                                       // 000000006BBC: 7E084504
	v_rcp_f32_e32 v5, v5                                       // 000000006BC0: 7E0A4505
	v_rcp_f32_e32 v6, v6                                       // 000000006BC4: 7E0C4506
	v_rcp_f32_e32 v7, v7                                       // 000000006BC8: 7E0E4507
	v_mul_f32_e32 v56, v56, v4                                 // 000000006BCC: 0A700938
	v_mul_f32_e32 v57, v57, v5                                 // 000000006BD0: 0A720B39
	v_mul_f32_e32 v58, v58, v6                                 // 000000006BD4: 0A740D3A
	v_mul_f32_e32 v59, v59, v7                                 // 000000006BD8: 0A760F3B
	v_mul_f32_e32 v56, v56, v88                                // 000000006BDC: 0A70B138
	v_mul_f32_e32 v57, v57, v89                                // 000000006BE0: 0A72B339
	v_mul_f32_e32 v58, v58, v90                                // 000000006BE4: 0A74B53A
	v_mul_f32_e32 v59, v59, v91                                // 000000006BE8: 0A76B73B
	v_pk_mul_f32 v[4:5], v[60:61], v[60:61]                    // 000000006BEC: D3B14004 1802793C
	v_pk_mul_f32 v[6:7], v[62:63], v[62:63]                    // 000000006BF4: D3B14006 18027D3E
	v_pk_fma_f32 v[4:5], v[4:5], s[78:79], v[8:9]              // 000000006BFC: D3B04004 1C209D04
	v_pk_fma_f32 v[6:7], v[6:7], s[78:79], v[8:9]              // 000000006C04: D3B04006 1C209D06
	v_pk_mul_f32 v[4:5], v[4:5], v[60:61]                      // 000000006C0C: D3B14004 18027904
	v_pk_mul_f32 v[6:7], v[6:7], v[62:63]                      // 000000006C14: D3B14006 18027D06
	v_pk_mul_f32 v[4:5], v[4:5], s[60:61]                      // 000000006C1C: D3B14004 18007904
	v_pk_mul_f32 v[6:7], v[6:7], s[60:61]                      // 000000006C24: D3B14006 18007906
	v_exp_f32_e32 v4, v4                                       // 000000006C2C: 7E084104
	v_exp_f32_e32 v5, v5                                       // 000000006C30: 7E0A4105
	v_exp_f32_e32 v6, v6                                       // 000000006C34: 7E0C4106
	v_exp_f32_e32 v7, v7                                       // 000000006C38: 7E0E4107
	v_add_f32_e64 v4, v4, 1.0                                  // 000000006C3C: D1010004 0001E504
	v_add_f32_e64 v5, v5, 1.0                                  // 000000006C44: D1010005 0001E505
	v_add_f32_e64 v6, v6, 1.0                                  // 000000006C4C: D1010006 0001E506
	v_add_f32_e64 v7, v7, 1.0                                  // 000000006C54: D1010007 0001E507
	v_rcp_f32_e32 v4, v4                                       // 000000006C5C: 7E084504
	v_rcp_f32_e32 v5, v5                                       // 000000006C60: 7E0A4505
	v_rcp_f32_e32 v6, v6                                       // 000000006C64: 7E0C4506
	v_rcp_f32_e32 v7, v7                                       // 000000006C68: 7E0E4507
	v_mul_f32_e32 v60, v60, v4                                 // 000000006C6C: 0A78093C
	v_mul_f32_e32 v61, v61, v5                                 // 000000006C70: 0A7A0B3D
	v_mul_f32_e32 v62, v62, v6                                 // 000000006C74: 0A7C0D3E
	v_mul_f32_e32 v63, v63, v7                                 // 000000006C78: 0A7E0F3F
	v_mul_f32_e32 v60, v60, v92                                // 000000006C7C: 0A78B93C
	v_mul_f32_e32 v61, v61, v93                                // 000000006C80: 0A7ABB3D
	v_mul_f32_e32 v62, v62, v94                                // 000000006C84: 0A7CBD3E
	v_mul_f32_e32 v63, v63, v95                                // 000000006C88: 0A7EBF3F
	v_pk_mul_f32 v[4:5], v[64:65], v[64:65]                    // 000000006C8C: D3B14004 18028140
	v_pk_mul_f32 v[6:7], v[66:67], v[66:67]                    // 000000006C94: D3B14006 18028542
	v_pk_fma_f32 v[4:5], v[4:5], s[78:79], v[8:9]              // 000000006C9C: D3B04004 1C209D04
	v_pk_fma_f32 v[6:7], v[6:7], s[78:79], v[8:9]              // 000000006CA4: D3B04006 1C209D06
	v_pk_mul_f32 v[4:5], v[4:5], v[64:65]                      // 000000006CAC: D3B14004 18028104
	v_pk_mul_f32 v[6:7], v[6:7], v[66:67]                      // 000000006CB4: D3B14006 18028506
	v_pk_mul_f32 v[4:5], v[4:5], s[60:61]                      // 000000006CBC: D3B14004 18007904
	v_pk_mul_f32 v[6:7], v[6:7], s[60:61]                      // 000000006CC4: D3B14006 18007906
	v_exp_f32_e32 v4, v4                                       // 000000006CCC: 7E084104
	v_exp_f32_e32 v5, v5                                       // 000000006CD0: 7E0A4105
	v_exp_f32_e32 v6, v6                                       // 000000006CD4: 7E0C4106
	v_exp_f32_e32 v7, v7                                       // 000000006CD8: 7E0E4107
	v_add_f32_e64 v4, v4, 1.0                                  // 000000006CDC: D1010004 0001E504
	v_add_f32_e64 v5, v5, 1.0                                  // 000000006CE4: D1010005 0001E505
	v_add_f32_e64 v6, v6, 1.0                                  // 000000006CEC: D1010006 0001E506
	v_add_f32_e64 v7, v7, 1.0                                  // 000000006CF4: D1010007 0001E507
	v_rcp_f32_e32 v4, v4                                       // 000000006CFC: 7E084504
	v_rcp_f32_e32 v5, v5                                       // 000000006D00: 7E0A4505
	v_rcp_f32_e32 v6, v6                                       // 000000006D04: 7E0C4506
	v_rcp_f32_e32 v7, v7                                       // 000000006D08: 7E0E4507
	v_mul_f32_e32 v64, v64, v4                                 // 000000006D0C: 0A800940
	v_mul_f32_e32 v65, v65, v5                                 // 000000006D10: 0A820B41
	v_mul_f32_e32 v66, v66, v6                                 // 000000006D14: 0A840D42
	v_mul_f32_e32 v67, v67, v7                                 // 000000006D18: 0A860F43
	v_mul_f32_e32 v64, v64, v96                                // 000000006D1C: 0A80C140
	v_mul_f32_e32 v65, v65, v97                                // 000000006D20: 0A82C341
	v_mul_f32_e32 v66, v66, v98                                // 000000006D24: 0A84C542
	v_mul_f32_e32 v67, v67, v99                                // 000000006D28: 0A86C743
	v_pk_mul_f32 v[4:5], v[68:69], v[68:69]                    // 000000006D2C: D3B14004 18028944
	v_pk_mul_f32 v[6:7], v[70:71], v[70:71]                    // 000000006D34: D3B14006 18028D46
	v_pk_fma_f32 v[4:5], v[4:5], s[78:79], v[8:9]              // 000000006D3C: D3B04004 1C209D04
	v_pk_fma_f32 v[6:7], v[6:7], s[78:79], v[8:9]              // 000000006D44: D3B04006 1C209D06
	v_pk_mul_f32 v[4:5], v[4:5], v[68:69]                      // 000000006D4C: D3B14004 18028904
	v_pk_mul_f32 v[6:7], v[6:7], v[70:71]                      // 000000006D54: D3B14006 18028D06
	v_pk_mul_f32 v[4:5], v[4:5], s[60:61]                      // 000000006D5C: D3B14004 18007904
	v_pk_mul_f32 v[6:7], v[6:7], s[60:61]                      // 000000006D64: D3B14006 18007906
	v_exp_f32_e32 v4, v4                                       // 000000006D6C: 7E084104
	v_exp_f32_e32 v5, v5                                       // 000000006D70: 7E0A4105
	v_exp_f32_e32 v6, v6                                       // 000000006D74: 7E0C4106
	v_exp_f32_e32 v7, v7                                       // 000000006D78: 7E0E4107
	v_add_f32_e64 v4, v4, 1.0                                  // 000000006D7C: D1010004 0001E504
	v_add_f32_e64 v5, v5, 1.0                                  // 000000006D84: D1010005 0001E505
	v_add_f32_e64 v6, v6, 1.0                                  // 000000006D8C: D1010006 0001E506
	v_add_f32_e64 v7, v7, 1.0                                  // 000000006D94: D1010007 0001E507
	v_rcp_f32_e32 v4, v4                                       // 000000006D9C: 7E084504
	v_rcp_f32_e32 v5, v5                                       // 000000006DA0: 7E0A4505
	v_rcp_f32_e32 v6, v6                                       // 000000006DA4: 7E0C4506
	v_rcp_f32_e32 v7, v7                                       // 000000006DA8: 7E0E4507
	v_mul_f32_e32 v68, v68, v4                                 // 000000006DAC: 0A880944
	v_mul_f32_e32 v69, v69, v5                                 // 000000006DB0: 0A8A0B45
	v_mul_f32_e32 v70, v70, v6                                 // 000000006DB4: 0A8C0D46
	v_mul_f32_e32 v71, v71, v7                                 // 000000006DB8: 0A8E0F47
	v_mul_f32_e32 v68, v68, v100                               // 000000006DBC: 0A88C944
	v_mul_f32_e32 v69, v69, v101                               // 000000006DC0: 0A8ACB45
	v_mul_f32_e32 v70, v70, v102                               // 000000006DC4: 0A8CCD46
	v_mul_f32_e32 v71, v71, v103                               // 000000006DC8: 0A8ECF47
	v_pk_mul_f32 v[4:5], v[72:73], v[72:73]                    // 000000006DCC: D3B14004 18029148
	v_pk_mul_f32 v[6:7], v[74:75], v[74:75]                    // 000000006DD4: D3B14006 1802954A
	v_pk_fma_f32 v[4:5], v[4:5], s[78:79], v[8:9]              // 000000006DDC: D3B04004 1C209D04
	v_pk_fma_f32 v[6:7], v[6:7], s[78:79], v[8:9]              // 000000006DE4: D3B04006 1C209D06
	v_pk_mul_f32 v[4:5], v[4:5], v[72:73]                      // 000000006DEC: D3B14004 18029104
	v_pk_mul_f32 v[6:7], v[6:7], v[74:75]                      // 000000006DF4: D3B14006 18029506
	v_pk_mul_f32 v[4:5], v[4:5], s[60:61]                      // 000000006DFC: D3B14004 18007904
	v_pk_mul_f32 v[6:7], v[6:7], s[60:61]                      // 000000006E04: D3B14006 18007906
	v_exp_f32_e32 v4, v4                                       // 000000006E0C: 7E084104
	v_exp_f32_e32 v5, v5                                       // 000000006E10: 7E0A4105
	v_exp_f32_e32 v6, v6                                       // 000000006E14: 7E0C4106
	v_exp_f32_e32 v7, v7                                       // 000000006E18: 7E0E4107
	v_add_f32_e64 v4, v4, 1.0                                  // 000000006E1C: D1010004 0001E504
	v_add_f32_e64 v5, v5, 1.0                                  // 000000006E24: D1010005 0001E505
	v_add_f32_e64 v6, v6, 1.0                                  // 000000006E2C: D1010006 0001E506
	v_add_f32_e64 v7, v7, 1.0                                  // 000000006E34: D1010007 0001E507
	v_rcp_f32_e32 v4, v4                                       // 000000006E3C: 7E084504
	v_rcp_f32_e32 v5, v5                                       // 000000006E40: 7E0A4505
	v_rcp_f32_e32 v6, v6                                       // 000000006E44: 7E0C4506
	v_rcp_f32_e32 v7, v7                                       // 000000006E48: 7E0E4507
	v_mul_f32_e32 v72, v72, v4                                 // 000000006E4C: 0A900948
	v_mul_f32_e32 v73, v73, v5                                 // 000000006E50: 0A920B49
	v_mul_f32_e32 v74, v74, v6                                 // 000000006E54: 0A940D4A
	v_mul_f32_e32 v75, v75, v7                                 // 000000006E58: 0A960F4B
	v_mul_f32_e32 v72, v72, v104                               // 000000006E5C: 0A90D148
	v_mul_f32_e32 v73, v73, v105                               // 000000006E60: 0A92D349
	v_mul_f32_e32 v74, v74, v106                               // 000000006E64: 0A94D54A
	v_mul_f32_e32 v75, v75, v107                               // 000000006E68: 0A96D74B
	v_pk_mul_f32 v[4:5], v[76:77], v[76:77]                    // 000000006E6C: D3B14004 1802994C
	v_pk_mul_f32 v[6:7], v[78:79], v[78:79]                    // 000000006E74: D3B14006 18029D4E
	v_pk_fma_f32 v[4:5], v[4:5], s[78:79], v[8:9]              // 000000006E7C: D3B04004 1C209D04
	v_pk_fma_f32 v[6:7], v[6:7], s[78:79], v[8:9]              // 000000006E84: D3B04006 1C209D06
	v_pk_mul_f32 v[4:5], v[4:5], v[76:77]                      // 000000006E8C: D3B14004 18029904
	v_pk_mul_f32 v[6:7], v[6:7], v[78:79]                      // 000000006E94: D3B14006 18029D06
	v_pk_mul_f32 v[4:5], v[4:5], s[60:61]                      // 000000006E9C: D3B14004 18007904
	v_pk_mul_f32 v[6:7], v[6:7], s[60:61]                      // 000000006EA4: D3B14006 18007906
	v_exp_f32_e32 v4, v4                                       // 000000006EAC: 7E084104
	v_exp_f32_e32 v5, v5                                       // 000000006EB0: 7E0A4105
	v_exp_f32_e32 v6, v6                                       // 000000006EB4: 7E0C4106
	v_exp_f32_e32 v7, v7                                       // 000000006EB8: 7E0E4107
	v_add_f32_e64 v4, v4, 1.0                                  // 000000006EBC: D1010004 0001E504
	v_add_f32_e64 v5, v5, 1.0                                  // 000000006EC4: D1010005 0001E505
	v_add_f32_e64 v6, v6, 1.0                                  // 000000006ECC: D1010006 0001E506
	v_add_f32_e64 v7, v7, 1.0                                  // 000000006ED4: D1010007 0001E507
	v_rcp_f32_e32 v4, v4                                       // 000000006EDC: 7E084504
	v_rcp_f32_e32 v5, v5                                       // 000000006EE0: 7E0A4505
	v_rcp_f32_e32 v6, v6                                       // 000000006EE4: 7E0C4506
	v_rcp_f32_e32 v7, v7                                       // 000000006EE8: 7E0E4507
	v_mul_f32_e32 v76, v76, v4                                 // 000000006EEC: 0A98094C
	v_mul_f32_e32 v77, v77, v5                                 // 000000006EF0: 0A9A0B4D
	v_mul_f32_e32 v78, v78, v6                                 // 000000006EF4: 0A9C0D4E
	v_mul_f32_e32 v79, v79, v7                                 // 000000006EF8: 0A9E0F4F
	v_mul_f32_e32 v76, v76, v108                               // 000000006EFC: 0A98D94C
	v_mul_f32_e32 v77, v77, v109                               // 000000006F00: 0A9ADB4D
	v_mul_f32_e32 v78, v78, v110                               // 000000006F04: 0A9CDD4E
	v_mul_f32_e32 v79, v79, v111                               // 000000006F08: 0A9EDF4F
	v_pk_mul_f32 v[4:5], v[80:81], v[80:81]                    // 000000006F0C: D3B14004 1802A150
	v_pk_mul_f32 v[6:7], v[82:83], v[82:83]                    // 000000006F14: D3B14006 1802A552
	v_pk_fma_f32 v[4:5], v[4:5], s[78:79], v[8:9]              // 000000006F1C: D3B04004 1C209D04
	v_pk_fma_f32 v[6:7], v[6:7], s[78:79], v[8:9]              // 000000006F24: D3B04006 1C209D06
	v_pk_mul_f32 v[4:5], v[4:5], v[80:81]                      // 000000006F2C: D3B14004 1802A104
	v_pk_mul_f32 v[6:7], v[6:7], v[82:83]                      // 000000006F34: D3B14006 1802A506
	v_pk_mul_f32 v[4:5], v[4:5], s[60:61]                      // 000000006F3C: D3B14004 18007904
	v_pk_mul_f32 v[6:7], v[6:7], s[60:61]                      // 000000006F44: D3B14006 18007906
	v_exp_f32_e32 v4, v4                                       // 000000006F4C: 7E084104
	v_exp_f32_e32 v5, v5                                       // 000000006F50: 7E0A4105
	v_exp_f32_e32 v6, v6                                       // 000000006F54: 7E0C4106
	v_exp_f32_e32 v7, v7                                       // 000000006F58: 7E0E4107
	v_add_f32_e64 v4, v4, 1.0                                  // 000000006F5C: D1010004 0001E504
	v_add_f32_e64 v5, v5, 1.0                                  // 000000006F64: D1010005 0001E505
	v_add_f32_e64 v6, v6, 1.0                                  // 000000006F6C: D1010006 0001E506
	v_add_f32_e64 v7, v7, 1.0                                  // 000000006F74: D1010007 0001E507
	v_rcp_f32_e32 v4, v4                                       // 000000006F7C: 7E084504
	v_rcp_f32_e32 v5, v5                                       // 000000006F80: 7E0A4505
	v_rcp_f32_e32 v6, v6                                       // 000000006F84: 7E0C4506
	v_rcp_f32_e32 v7, v7                                       // 000000006F88: 7E0E4507
	v_mul_f32_e32 v80, v80, v4                                 // 000000006F8C: 0AA00950
	v_mul_f32_e32 v81, v81, v5                                 // 000000006F90: 0AA20B51
	v_mul_f32_e32 v82, v82, v6                                 // 000000006F94: 0AA40D52
	v_mul_f32_e32 v83, v83, v7                                 // 000000006F98: 0AA60F53
	v_mul_f32_e32 v80, v80, v112                               // 000000006F9C: 0AA0E150
	v_mul_f32_e32 v81, v81, v113                               // 000000006FA0: 0AA2E351
	v_mul_f32_e32 v82, v82, v114                               // 000000006FA4: 0AA4E552
	v_mul_f32_e32 v83, v83, v115                               // 000000006FA8: 0AA6E753
	v_pk_mul_f32 v[4:5], v[84:85], v[84:85]                    // 000000006FAC: D3B14004 1802A954
	v_pk_mul_f32 v[6:7], v[86:87], v[86:87]                    // 000000006FB4: D3B14006 1802AD56
	v_pk_fma_f32 v[4:5], v[4:5], s[78:79], v[8:9]              // 000000006FBC: D3B04004 1C209D04
	v_pk_fma_f32 v[6:7], v[6:7], s[78:79], v[8:9]              // 000000006FC4: D3B04006 1C209D06
	v_pk_mul_f32 v[4:5], v[4:5], v[84:85]                      // 000000006FCC: D3B14004 1802A904
	v_pk_mul_f32 v[6:7], v[6:7], v[86:87]                      // 000000006FD4: D3B14006 1802AD06
	v_pk_mul_f32 v[4:5], v[4:5], s[60:61]                      // 000000006FDC: D3B14004 18007904
	v_pk_mul_f32 v[6:7], v[6:7], s[60:61]                      // 000000006FE4: D3B14006 18007906
	v_exp_f32_e32 v4, v4                                       // 000000006FEC: 7E084104
	v_exp_f32_e32 v5, v5                                       // 000000006FF0: 7E0A4105
	v_exp_f32_e32 v6, v6                                       // 000000006FF4: 7E0C4106
	v_exp_f32_e32 v7, v7                                       // 000000006FF8: 7E0E4107
	v_add_f32_e64 v4, v4, 1.0                                  // 000000006FFC: D1010004 0001E504
	v_add_f32_e64 v5, v5, 1.0                                  // 000000007004: D1010005 0001E505
	v_add_f32_e64 v6, v6, 1.0                                  // 00000000700C: D1010006 0001E506
	v_add_f32_e64 v7, v7, 1.0                                  // 000000007014: D1010007 0001E507
	v_rcp_f32_e32 v4, v4                                       // 00000000701C: 7E084504
	v_rcp_f32_e32 v5, v5                                       // 000000007020: 7E0A4505
	v_rcp_f32_e32 v6, v6                                       // 000000007024: 7E0C4506
	v_rcp_f32_e32 v7, v7                                       // 000000007028: 7E0E4507
	v_mul_f32_e32 v84, v84, v4                                 // 00000000702C: 0AA80954
	v_mul_f32_e32 v85, v85, v5                                 // 000000007030: 0AAA0B55
	v_mul_f32_e32 v86, v86, v6                                 // 000000007034: 0AAC0D56
	v_mul_f32_e32 v87, v87, v7                                 // 000000007038: 0AAE0F57
	v_mul_f32_e32 v84, v84, v116                               // 00000000703C: 0AA8E954
	v_mul_f32_e32 v85, v85, v117                               // 000000007040: 0AAAEB55
	v_mul_f32_e32 v86, v86, v118                               // 000000007044: 0AACED56
	v_mul_f32_e32 v87, v87, v119                               // 000000007048: 0AAEEF57
	s_branch label_1297                                        // 00000000704C: BF820100

0000000000007050 <label_1197>:
	v_mul_f32_e64 v4, -v56, s6                                 // 000000007050: D1050004 20000D38
	v_mul_f32_e64 v5, -v57, s6                                 // 000000007058: D1050005 20000D39
	v_mul_f32_e64 v6, -v58, s6                                 // 000000007060: D1050006 20000D3A
	v_mul_f32_e64 v7, -v59, s6                                 // 000000007068: D1050007 20000D3B
	v_exp_f32_e32 v4, v4                                       // 000000007070: 7E084104
	v_exp_f32_e32 v5, v5                                       // 000000007074: 7E0A4105
	v_exp_f32_e32 v6, v6                                       // 000000007078: 7E0C4106
	v_exp_f32_e32 v7, v7                                       // 00000000707C: 7E0E4107
	v_add_f32_e64 v4, v4, 1.0                                  // 000000007080: D1010004 0001E504
	v_add_f32_e64 v5, v5, 1.0                                  // 000000007088: D1010005 0001E505
	v_add_f32_e64 v6, v6, 1.0                                  // 000000007090: D1010006 0001E506
	v_add_f32_e64 v7, v7, 1.0                                  // 000000007098: D1010007 0001E507
	v_rcp_f32_e32 v4, v4                                       // 0000000070A0: 7E084504
	v_rcp_f32_e32 v5, v5                                       // 0000000070A4: 7E0A4505
	v_rcp_f32_e32 v6, v6                                       // 0000000070A8: 7E0C4506
	v_rcp_f32_e32 v7, v7                                       // 0000000070AC: 7E0E4507
	v_mul_f32_e32 v56, v56, v4                                 // 0000000070B0: 0A700938
	v_mul_f32_e32 v57, v57, v5                                 // 0000000070B4: 0A720B39
	v_mul_f32_e32 v58, v58, v6                                 // 0000000070B8: 0A740D3A
	v_mul_f32_e32 v59, v59, v7                                 // 0000000070BC: 0A760F3B
	v_mul_f32_e32 v56, v56, v88                                // 0000000070C0: 0A70B138
	v_mul_f32_e32 v57, v57, v89                                // 0000000070C4: 0A72B339
	v_mul_f32_e32 v58, v58, v90                                // 0000000070C8: 0A74B53A
	v_mul_f32_e32 v59, v59, v91                                // 0000000070CC: 0A76B73B
	v_mul_f32_e64 v4, -v60, s6                                 // 0000000070D0: D1050004 20000D3C
	v_mul_f32_e64 v5, -v61, s6                                 // 0000000070D8: D1050005 20000D3D
	v_mul_f32_e64 v6, -v62, s6                                 // 0000000070E0: D1050006 20000D3E
	v_mul_f32_e64 v7, -v63, s6                                 // 0000000070E8: D1050007 20000D3F
	v_exp_f32_e32 v4, v4                                       // 0000000070F0: 7E084104
	v_exp_f32_e32 v5, v5                                       // 0000000070F4: 7E0A4105
	v_exp_f32_e32 v6, v6                                       // 0000000070F8: 7E0C4106
	v_exp_f32_e32 v7, v7                                       // 0000000070FC: 7E0E4107
	v_add_f32_e64 v4, v4, 1.0                                  // 000000007100: D1010004 0001E504
	v_add_f32_e64 v5, v5, 1.0                                  // 000000007108: D1010005 0001E505
	v_add_f32_e64 v6, v6, 1.0                                  // 000000007110: D1010006 0001E506
	v_add_f32_e64 v7, v7, 1.0                                  // 000000007118: D1010007 0001E507
	v_rcp_f32_e32 v4, v4                                       // 000000007120: 7E084504
	v_rcp_f32_e32 v5, v5                                       // 000000007124: 7E0A4505
	v_rcp_f32_e32 v6, v6                                       // 000000007128: 7E0C4506
	v_rcp_f32_e32 v7, v7                                       // 00000000712C: 7E0E4507
	v_mul_f32_e32 v60, v60, v4                                 // 000000007130: 0A78093C
	v_mul_f32_e32 v61, v61, v5                                 // 000000007134: 0A7A0B3D
	v_mul_f32_e32 v62, v62, v6                                 // 000000007138: 0A7C0D3E
	v_mul_f32_e32 v63, v63, v7                                 // 00000000713C: 0A7E0F3F
	v_mul_f32_e32 v60, v60, v92                                // 000000007140: 0A78B93C
	v_mul_f32_e32 v61, v61, v93                                // 000000007144: 0A7ABB3D
	v_mul_f32_e32 v62, v62, v94                                // 000000007148: 0A7CBD3E
	v_mul_f32_e32 v63, v63, v95                                // 00000000714C: 0A7EBF3F
	v_mul_f32_e64 v4, -v64, s6                                 // 000000007150: D1050004 20000D40
	v_mul_f32_e64 v5, -v65, s6                                 // 000000007158: D1050005 20000D41
	v_mul_f32_e64 v6, -v66, s6                                 // 000000007160: D1050006 20000D42
	v_mul_f32_e64 v7, -v67, s6                                 // 000000007168: D1050007 20000D43
	v_exp_f32_e32 v4, v4                                       // 000000007170: 7E084104
	v_exp_f32_e32 v5, v5                                       // 000000007174: 7E0A4105
	v_exp_f32_e32 v6, v6                                       // 000000007178: 7E0C4106
	v_exp_f32_e32 v7, v7                                       // 00000000717C: 7E0E4107
	v_add_f32_e64 v4, v4, 1.0                                  // 000000007180: D1010004 0001E504
	v_add_f32_e64 v5, v5, 1.0                                  // 000000007188: D1010005 0001E505
	v_add_f32_e64 v6, v6, 1.0                                  // 000000007190: D1010006 0001E506
	v_add_f32_e64 v7, v7, 1.0                                  // 000000007198: D1010007 0001E507
	v_rcp_f32_e32 v4, v4                                       // 0000000071A0: 7E084504
	v_rcp_f32_e32 v5, v5                                       // 0000000071A4: 7E0A4505
	v_rcp_f32_e32 v6, v6                                       // 0000000071A8: 7E0C4506
	v_rcp_f32_e32 v7, v7                                       // 0000000071AC: 7E0E4507
	v_mul_f32_e32 v64, v64, v4                                 // 0000000071B0: 0A800940
	v_mul_f32_e32 v65, v65, v5                                 // 0000000071B4: 0A820B41
	v_mul_f32_e32 v66, v66, v6                                 // 0000000071B8: 0A840D42
	v_mul_f32_e32 v67, v67, v7                                 // 0000000071BC: 0A860F43
	v_mul_f32_e32 v64, v64, v96                                // 0000000071C0: 0A80C140
	v_mul_f32_e32 v65, v65, v97                                // 0000000071C4: 0A82C341
	v_mul_f32_e32 v66, v66, v98                                // 0000000071C8: 0A84C542
	v_mul_f32_e32 v67, v67, v99                                // 0000000071CC: 0A86C743
	v_mul_f32_e64 v4, -v68, s6                                 // 0000000071D0: D1050004 20000D44
	v_mul_f32_e64 v5, -v69, s6                                 // 0000000071D8: D1050005 20000D45
	v_mul_f32_e64 v6, -v70, s6                                 // 0000000071E0: D1050006 20000D46
	v_mul_f32_e64 v7, -v71, s6                                 // 0000000071E8: D1050007 20000D47
	v_exp_f32_e32 v4, v4                                       // 0000000071F0: 7E084104
	v_exp_f32_e32 v5, v5                                       // 0000000071F4: 7E0A4105
	v_exp_f32_e32 v6, v6                                       // 0000000071F8: 7E0C4106
	v_exp_f32_e32 v7, v7                                       // 0000000071FC: 7E0E4107
	v_add_f32_e64 v4, v4, 1.0                                  // 000000007200: D1010004 0001E504
	v_add_f32_e64 v5, v5, 1.0                                  // 000000007208: D1010005 0001E505
	v_add_f32_e64 v6, v6, 1.0                                  // 000000007210: D1010006 0001E506
	v_add_f32_e64 v7, v7, 1.0                                  // 000000007218: D1010007 0001E507
	v_rcp_f32_e32 v4, v4                                       // 000000007220: 7E084504
	v_rcp_f32_e32 v5, v5                                       // 000000007224: 7E0A4505
	v_rcp_f32_e32 v6, v6                                       // 000000007228: 7E0C4506
	v_rcp_f32_e32 v7, v7                                       // 00000000722C: 7E0E4507
	v_mul_f32_e32 v68, v68, v4                                 // 000000007230: 0A880944
	v_mul_f32_e32 v69, v69, v5                                 // 000000007234: 0A8A0B45
	v_mul_f32_e32 v70, v70, v6                                 // 000000007238: 0A8C0D46
	v_mul_f32_e32 v71, v71, v7                                 // 00000000723C: 0A8E0F47
	v_mul_f32_e32 v68, v68, v100                               // 000000007240: 0A88C944
	v_mul_f32_e32 v69, v69, v101                               // 000000007244: 0A8ACB45
	v_mul_f32_e32 v70, v70, v102                               // 000000007248: 0A8CCD46
	v_mul_f32_e32 v71, v71, v103                               // 00000000724C: 0A8ECF47
	v_mul_f32_e64 v4, -v72, s6                                 // 000000007250: D1050004 20000D48
	v_mul_f32_e64 v5, -v73, s6                                 // 000000007258: D1050005 20000D49
	v_mul_f32_e64 v6, -v74, s6                                 // 000000007260: D1050006 20000D4A
	v_mul_f32_e64 v7, -v75, s6                                 // 000000007268: D1050007 20000D4B
	v_exp_f32_e32 v4, v4                                       // 000000007270: 7E084104
	v_exp_f32_e32 v5, v5                                       // 000000007274: 7E0A4105
	v_exp_f32_e32 v6, v6                                       // 000000007278: 7E0C4106
	v_exp_f32_e32 v7, v7                                       // 00000000727C: 7E0E4107
	v_add_f32_e64 v4, v4, 1.0                                  // 000000007280: D1010004 0001E504
	v_add_f32_e64 v5, v5, 1.0                                  // 000000007288: D1010005 0001E505
	v_add_f32_e64 v6, v6, 1.0                                  // 000000007290: D1010006 0001E506
	v_add_f32_e64 v7, v7, 1.0                                  // 000000007298: D1010007 0001E507
	v_rcp_f32_e32 v4, v4                                       // 0000000072A0: 7E084504
	v_rcp_f32_e32 v5, v5                                       // 0000000072A4: 7E0A4505
	v_rcp_f32_e32 v6, v6                                       // 0000000072A8: 7E0C4506
	v_rcp_f32_e32 v7, v7                                       // 0000000072AC: 7E0E4507
	v_mul_f32_e32 v72, v72, v4                                 // 0000000072B0: 0A900948
	v_mul_f32_e32 v73, v73, v5                                 // 0000000072B4: 0A920B49
	v_mul_f32_e32 v74, v74, v6                                 // 0000000072B8: 0A940D4A
	v_mul_f32_e32 v75, v75, v7                                 // 0000000072BC: 0A960F4B
	v_mul_f32_e32 v72, v72, v104                               // 0000000072C0: 0A90D148
	v_mul_f32_e32 v73, v73, v105                               // 0000000072C4: 0A92D349
	v_mul_f32_e32 v74, v74, v106                               // 0000000072C8: 0A94D54A
	v_mul_f32_e32 v75, v75, v107                               // 0000000072CC: 0A96D74B
	v_mul_f32_e64 v4, -v76, s6                                 // 0000000072D0: D1050004 20000D4C
	v_mul_f32_e64 v5, -v77, s6                                 // 0000000072D8: D1050005 20000D4D
	v_mul_f32_e64 v6, -v78, s6                                 // 0000000072E0: D1050006 20000D4E
	v_mul_f32_e64 v7, -v79, s6                                 // 0000000072E8: D1050007 20000D4F
	v_exp_f32_e32 v4, v4                                       // 0000000072F0: 7E084104
	v_exp_f32_e32 v5, v5                                       // 0000000072F4: 7E0A4105
	v_exp_f32_e32 v6, v6                                       // 0000000072F8: 7E0C4106
	v_exp_f32_e32 v7, v7                                       // 0000000072FC: 7E0E4107
	v_add_f32_e64 v4, v4, 1.0                                  // 000000007300: D1010004 0001E504
	v_add_f32_e64 v5, v5, 1.0                                  // 000000007308: D1010005 0001E505
	v_add_f32_e64 v6, v6, 1.0                                  // 000000007310: D1010006 0001E506
	v_add_f32_e64 v7, v7, 1.0                                  // 000000007318: D1010007 0001E507
	v_rcp_f32_e32 v4, v4                                       // 000000007320: 7E084504
	v_rcp_f32_e32 v5, v5                                       // 000000007324: 7E0A4505
	v_rcp_f32_e32 v6, v6                                       // 000000007328: 7E0C4506
	v_rcp_f32_e32 v7, v7                                       // 00000000732C: 7E0E4507
	v_mul_f32_e32 v76, v76, v4                                 // 000000007330: 0A98094C
	v_mul_f32_e32 v77, v77, v5                                 // 000000007334: 0A9A0B4D
	v_mul_f32_e32 v78, v78, v6                                 // 000000007338: 0A9C0D4E
	v_mul_f32_e32 v79, v79, v7                                 // 00000000733C: 0A9E0F4F
	v_mul_f32_e32 v76, v76, v108                               // 000000007340: 0A98D94C
	v_mul_f32_e32 v77, v77, v109                               // 000000007344: 0A9ADB4D
	v_mul_f32_e32 v78, v78, v110                               // 000000007348: 0A9CDD4E
	v_mul_f32_e32 v79, v79, v111                               // 00000000734C: 0A9EDF4F
	v_mul_f32_e64 v4, -v80, s6                                 // 000000007350: D1050004 20000D50
	v_mul_f32_e64 v5, -v81, s6                                 // 000000007358: D1050005 20000D51
	v_mul_f32_e64 v6, -v82, s6                                 // 000000007360: D1050006 20000D52
	v_mul_f32_e64 v7, -v83, s6                                 // 000000007368: D1050007 20000D53
	v_exp_f32_e32 v4, v4                                       // 000000007370: 7E084104
	v_exp_f32_e32 v5, v5                                       // 000000007374: 7E0A4105
	v_exp_f32_e32 v6, v6                                       // 000000007378: 7E0C4106
	v_exp_f32_e32 v7, v7                                       // 00000000737C: 7E0E4107
	v_add_f32_e64 v4, v4, 1.0                                  // 000000007380: D1010004 0001E504
	v_add_f32_e64 v5, v5, 1.0                                  // 000000007388: D1010005 0001E505
	v_add_f32_e64 v6, v6, 1.0                                  // 000000007390: D1010006 0001E506
	v_add_f32_e64 v7, v7, 1.0                                  // 000000007398: D1010007 0001E507
	v_rcp_f32_e32 v4, v4                                       // 0000000073A0: 7E084504
	v_rcp_f32_e32 v5, v5                                       // 0000000073A4: 7E0A4505
	v_rcp_f32_e32 v6, v6                                       // 0000000073A8: 7E0C4506
	v_rcp_f32_e32 v7, v7                                       // 0000000073AC: 7E0E4507
	v_mul_f32_e32 v80, v80, v4                                 // 0000000073B0: 0AA00950
	v_mul_f32_e32 v81, v81, v5                                 // 0000000073B4: 0AA20B51
	v_mul_f32_e32 v82, v82, v6                                 // 0000000073B8: 0AA40D52
	v_mul_f32_e32 v83, v83, v7                                 // 0000000073BC: 0AA60F53
	v_mul_f32_e32 v80, v80, v112                               // 0000000073C0: 0AA0E150
	v_mul_f32_e32 v81, v81, v113                               // 0000000073C4: 0AA2E351
	v_mul_f32_e32 v82, v82, v114                               // 0000000073C8: 0AA4E552
	v_mul_f32_e32 v83, v83, v115                               // 0000000073CC: 0AA6E753
	v_mul_f32_e64 v4, -v84, s6                                 // 0000000073D0: D1050004 20000D54
	v_mul_f32_e64 v5, -v85, s6                                 // 0000000073D8: D1050005 20000D55
	v_mul_f32_e64 v6, -v86, s6                                 // 0000000073E0: D1050006 20000D56
	v_mul_f32_e64 v7, -v87, s6                                 // 0000000073E8: D1050007 20000D57
	v_exp_f32_e32 v4, v4                                       // 0000000073F0: 7E084104
	v_exp_f32_e32 v5, v5                                       // 0000000073F4: 7E0A4105
	v_exp_f32_e32 v6, v6                                       // 0000000073F8: 7E0C4106
	v_exp_f32_e32 v7, v7                                       // 0000000073FC: 7E0E4107
	v_add_f32_e64 v4, v4, 1.0                                  // 000000007400: D1010004 0001E504
	v_add_f32_e64 v5, v5, 1.0                                  // 000000007408: D1010005 0001E505
	v_add_f32_e64 v6, v6, 1.0                                  // 000000007410: D1010006 0001E506
	v_add_f32_e64 v7, v7, 1.0                                  // 000000007418: D1010007 0001E507
	v_rcp_f32_e32 v4, v4                                       // 000000007420: 7E084504
	v_rcp_f32_e32 v5, v5                                       // 000000007424: 7E0A4505
	v_rcp_f32_e32 v6, v6                                       // 000000007428: 7E0C4506
	v_rcp_f32_e32 v7, v7                                       // 00000000742C: 7E0E4507
	v_mul_f32_e32 v84, v84, v4                                 // 000000007430: 0AA80954
	v_mul_f32_e32 v85, v85, v5                                 // 000000007434: 0AAA0B55
	v_mul_f32_e32 v86, v86, v6                                 // 000000007438: 0AAC0D56
	v_mul_f32_e32 v87, v87, v7                                 // 00000000743C: 0AAE0F57
	v_mul_f32_e32 v84, v84, v116                               // 000000007440: 0AA8E954
	v_mul_f32_e32 v85, v85, v117                               // 000000007444: 0AAAEB55
	v_mul_f32_e32 v86, v86, v118                               // 000000007448: 0AACED56
	v_mul_f32_e32 v87, v87, v119                               // 00000000744C: 0AAEEF57

0000000000007450 <label_1297>:
	v_cmp_u_f32_e64 s[46:47], v56, v56                         // 000000007450: D048002E 00027138
	v_add3_u32 v16, v56, v19, 1                                // 000000007458: D1FF0010 02062738
	v_cndmask_b32_e64 v4, v16, v18, s[46:47]                   // 000000007460: D1000004 00BA2510
	v_cmp_u_f32_e64 s[46:47], v57, v57                         // 000000007468: D048002E 00027339
	v_add3_u32 v16, v57, v19, 1                                // 000000007470: D1FF0010 02062739
	v_cndmask_b32_e64 v5, v16, v18, s[46:47]                   // 000000007478: D1000005 00BA2510
	v_perm_b32 v56, v5, v4, s52                                // 000000007480: D1ED0038 00D20905
	v_cmp_u_f32_e64 s[46:47], v58, v58                         // 000000007488: D048002E 0002753A
	v_add3_u32 v16, v58, v19, 1                                // 000000007490: D1FF0010 0206273A
	v_cndmask_b32_e64 v4, v16, v18, s[46:47]                   // 000000007498: D1000004 00BA2510
	v_cmp_u_f32_e64 s[46:47], v59, v59                         // 0000000074A0: D048002E 0002773B
	v_add3_u32 v16, v59, v19, 1                                // 0000000074A8: D1FF0010 0206273B
	v_cndmask_b32_e64 v5, v16, v18, s[46:47]                   // 0000000074B0: D1000005 00BA2510
	v_perm_b32 v57, v5, v4, s52                                // 0000000074B8: D1ED0039 00D20905
	v_cmp_u_f32_e64 s[46:47], v60, v60                         // 0000000074C0: D048002E 0002793C
	v_add3_u32 v16, v60, v19, 1                                // 0000000074C8: D1FF0010 0206273C
	v_cndmask_b32_e64 v4, v16, v18, s[46:47]                   // 0000000074D0: D1000004 00BA2510
	v_cmp_u_f32_e64 s[46:47], v61, v61                         // 0000000074D8: D048002E 00027B3D
	v_add3_u32 v16, v61, v19, 1                                // 0000000074E0: D1FF0010 0206273D
	v_cndmask_b32_e64 v5, v16, v18, s[46:47]                   // 0000000074E8: D1000005 00BA2510
	v_perm_b32 v58, v5, v4, s52                                // 0000000074F0: D1ED003A 00D20905
	v_cmp_u_f32_e64 s[46:47], v62, v62                         // 0000000074F8: D048002E 00027D3E
	v_add3_u32 v16, v62, v19, 1                                // 000000007500: D1FF0010 0206273E
	v_cndmask_b32_e64 v4, v16, v18, s[46:47]                   // 000000007508: D1000004 00BA2510
	v_cmp_u_f32_e64 s[46:47], v63, v63                         // 000000007510: D048002E 00027F3F
	v_add3_u32 v16, v63, v19, 1                                // 000000007518: D1FF0010 0206273F
	v_cndmask_b32_e64 v5, v16, v18, s[46:47]                   // 000000007520: D1000005 00BA2510
	v_perm_b32 v59, v5, v4, s52                                // 000000007528: D1ED003B 00D20905
	v_cmp_u_f32_e64 s[46:47], v64, v64                         // 000000007530: D048002E 00028140
	v_add3_u32 v16, v64, v19, 1                                // 000000007538: D1FF0010 02062740
	v_cndmask_b32_e64 v4, v16, v18, s[46:47]                   // 000000007540: D1000004 00BA2510
	v_cmp_u_f32_e64 s[46:47], v65, v65                         // 000000007548: D048002E 00028341
	v_add3_u32 v16, v65, v19, 1                                // 000000007550: D1FF0010 02062741
	v_cndmask_b32_e64 v5, v16, v18, s[46:47]                   // 000000007558: D1000005 00BA2510
	v_perm_b32 v60, v5, v4, s52                                // 000000007560: D1ED003C 00D20905
	v_cmp_u_f32_e64 s[46:47], v66, v66                         // 000000007568: D048002E 00028542
	v_add3_u32 v16, v66, v19, 1                                // 000000007570: D1FF0010 02062742
	v_cndmask_b32_e64 v4, v16, v18, s[46:47]                   // 000000007578: D1000004 00BA2510
	v_cmp_u_f32_e64 s[46:47], v67, v67                         // 000000007580: D048002E 00028743
	v_add3_u32 v16, v67, v19, 1                                // 000000007588: D1FF0010 02062743
	v_cndmask_b32_e64 v5, v16, v18, s[46:47]                   // 000000007590: D1000005 00BA2510
	v_perm_b32 v61, v5, v4, s52                                // 000000007598: D1ED003D 00D20905
	v_cmp_u_f32_e64 s[46:47], v68, v68                         // 0000000075A0: D048002E 00028944
	v_add3_u32 v16, v68, v19, 1                                // 0000000075A8: D1FF0010 02062744
	v_cndmask_b32_e64 v4, v16, v18, s[46:47]                   // 0000000075B0: D1000004 00BA2510
	v_cmp_u_f32_e64 s[46:47], v69, v69                         // 0000000075B8: D048002E 00028B45
	v_add3_u32 v16, v69, v19, 1                                // 0000000075C0: D1FF0010 02062745
	v_cndmask_b32_e64 v5, v16, v18, s[46:47]                   // 0000000075C8: D1000005 00BA2510
	v_perm_b32 v62, v5, v4, s52                                // 0000000075D0: D1ED003E 00D20905
	v_cmp_u_f32_e64 s[46:47], v70, v70                         // 0000000075D8: D048002E 00028D46
	v_add3_u32 v16, v70, v19, 1                                // 0000000075E0: D1FF0010 02062746
	v_cndmask_b32_e64 v4, v16, v18, s[46:47]                   // 0000000075E8: D1000004 00BA2510
	v_cmp_u_f32_e64 s[46:47], v71, v71                         // 0000000075F0: D048002E 00028F47
	v_add3_u32 v16, v71, v19, 1                                // 0000000075F8: D1FF0010 02062747
	v_cndmask_b32_e64 v5, v16, v18, s[46:47]                   // 000000007600: D1000005 00BA2510
	v_perm_b32 v63, v5, v4, s52                                // 000000007608: D1ED003F 00D20905
	v_cmp_u_f32_e64 s[46:47], v72, v72                         // 000000007610: D048002E 00029148
	v_add3_u32 v16, v72, v19, 1                                // 000000007618: D1FF0010 02062748
	v_cndmask_b32_e64 v4, v16, v18, s[46:47]                   // 000000007620: D1000004 00BA2510
	v_cmp_u_f32_e64 s[46:47], v73, v73                         // 000000007628: D048002E 00029349
	v_add3_u32 v16, v73, v19, 1                                // 000000007630: D1FF0010 02062749
	v_cndmask_b32_e64 v5, v16, v18, s[46:47]                   // 000000007638: D1000005 00BA2510
	v_perm_b32 v64, v5, v4, s52                                // 000000007640: D1ED0040 00D20905
	v_cmp_u_f32_e64 s[46:47], v74, v74                         // 000000007648: D048002E 0002954A
	v_add3_u32 v16, v74, v19, 1                                // 000000007650: D1FF0010 0206274A
	v_cndmask_b32_e64 v4, v16, v18, s[46:47]                   // 000000007658: D1000004 00BA2510
	v_cmp_u_f32_e64 s[46:47], v75, v75                         // 000000007660: D048002E 0002974B
	v_add3_u32 v16, v75, v19, 1                                // 000000007668: D1FF0010 0206274B
	v_cndmask_b32_e64 v5, v16, v18, s[46:47]                   // 000000007670: D1000005 00BA2510
	v_perm_b32 v65, v5, v4, s52                                // 000000007678: D1ED0041 00D20905
	v_cmp_u_f32_e64 s[46:47], v76, v76                         // 000000007680: D048002E 0002994C
	v_add3_u32 v16, v76, v19, 1                                // 000000007688: D1FF0010 0206274C
	v_cndmask_b32_e64 v4, v16, v18, s[46:47]                   // 000000007690: D1000004 00BA2510
	v_cmp_u_f32_e64 s[46:47], v77, v77                         // 000000007698: D048002E 00029B4D
	v_add3_u32 v16, v77, v19, 1                                // 0000000076A0: D1FF0010 0206274D
	v_cndmask_b32_e64 v5, v16, v18, s[46:47]                   // 0000000076A8: D1000005 00BA2510
	v_perm_b32 v66, v5, v4, s52                                // 0000000076B0: D1ED0042 00D20905
	v_cmp_u_f32_e64 s[46:47], v78, v78                         // 0000000076B8: D048002E 00029D4E
	v_add3_u32 v16, v78, v19, 1                                // 0000000076C0: D1FF0010 0206274E
	v_cndmask_b32_e64 v4, v16, v18, s[46:47]                   // 0000000076C8: D1000004 00BA2510
	v_cmp_u_f32_e64 s[46:47], v79, v79                         // 0000000076D0: D048002E 00029F4F
	v_add3_u32 v16, v79, v19, 1                                // 0000000076D8: D1FF0010 0206274F
	v_cndmask_b32_e64 v5, v16, v18, s[46:47]                   // 0000000076E0: D1000005 00BA2510
	v_perm_b32 v67, v5, v4, s52                                // 0000000076E8: D1ED0043 00D20905
	v_cmp_u_f32_e64 s[46:47], v80, v80                         // 0000000076F0: D048002E 0002A150
	v_add3_u32 v16, v80, v19, 1                                // 0000000076F8: D1FF0010 02062750
	v_cndmask_b32_e64 v4, v16, v18, s[46:47]                   // 000000007700: D1000004 00BA2510
	v_cmp_u_f32_e64 s[46:47], v81, v81                         // 000000007708: D048002E 0002A351
	v_add3_u32 v16, v81, v19, 1                                // 000000007710: D1FF0010 02062751
	v_cndmask_b32_e64 v5, v16, v18, s[46:47]                   // 000000007718: D1000005 00BA2510
	v_perm_b32 v68, v5, v4, s52                                // 000000007720: D1ED0044 00D20905
	v_cmp_u_f32_e64 s[46:47], v82, v82                         // 000000007728: D048002E 0002A552
	v_add3_u32 v16, v82, v19, 1                                // 000000007730: D1FF0010 02062752
	v_cndmask_b32_e64 v4, v16, v18, s[46:47]                   // 000000007738: D1000004 00BA2510
	v_cmp_u_f32_e64 s[46:47], v83, v83                         // 000000007740: D048002E 0002A753
	v_add3_u32 v16, v83, v19, 1                                // 000000007748: D1FF0010 02062753
	v_cndmask_b32_e64 v5, v16, v18, s[46:47]                   // 000000007750: D1000005 00BA2510
	v_perm_b32 v69, v5, v4, s52                                // 000000007758: D1ED0045 00D20905
	v_cmp_u_f32_e64 s[46:47], v84, v84                         // 000000007760: D048002E 0002A954
	v_add3_u32 v16, v84, v19, 1                                // 000000007768: D1FF0010 02062754
	v_cndmask_b32_e64 v4, v16, v18, s[46:47]                   // 000000007770: D1000004 00BA2510
	v_cmp_u_f32_e64 s[46:47], v85, v85                         // 000000007778: D048002E 0002AB55
	v_add3_u32 v16, v85, v19, 1                                // 000000007780: D1FF0010 02062755
	v_cndmask_b32_e64 v5, v16, v18, s[46:47]                   // 000000007788: D1000005 00BA2510
	v_perm_b32 v70, v5, v4, s52                                // 000000007790: D1ED0046 00D20905
	v_cmp_u_f32_e64 s[46:47], v86, v86                         // 000000007798: D048002E 0002AD56
	v_add3_u32 v16, v86, v19, 1                                // 0000000077A0: D1FF0010 02062756
	v_cndmask_b32_e64 v4, v16, v18, s[46:47]                   // 0000000077A8: D1000004 00BA2510
	v_cmp_u_f32_e64 s[46:47], v87, v87                         // 0000000077B0: D048002E 0002AF57
	v_add3_u32 v16, v87, v19, 1                                // 0000000077B8: D1FF0010 02062757
	v_cndmask_b32_e64 v5, v16, v18, s[46:47]                   // 0000000077C0: D1000005 00BA2510
	v_perm_b32 v71, v5, v4, s52                                // 0000000077C8: D1ED0047 00D20905
	ds_write_b64 v20, v[56:57]                                 // 0000000077D0: D89A0000 00003814
	ds_write_b64 v20, v[58:59] offset:4352                     // 0000000077D8: D89A1100 00003A14
	ds_write_b64 v20, v[60:61] offset:8704                     // 0000000077E0: D89A2200 00003C14
	ds_write_b64 v20, v[62:63] offset:13056                    // 0000000077E8: D89A3300 00003E14
	ds_write_b64 v20, v[64:65] offset:2176                     // 0000000077F0: D89A0880 00004014
	ds_write_b64 v20, v[66:67] offset:6528                     // 0000000077F8: D89A1980 00004214
	ds_write_b64 v20, v[68:69] offset:10880                    // 000000007800: D89A2A80 00004414
	ds_write_b64 v20, v[70:71] offset:15232                    // 000000007808: D89A3B80 00004614
	v_lshrrev_b32_e32 v4, 5, v0                                // 000000007810: 20080085
	v_xor_b32_e32 v5, 1, v4                                    // 000000007814: 2A0A0881
	s_mul_i32 s60, s65, 2                                      // 000000007818: 923C8241
	s_cmp_eq_u32 s88, 0                                        // 00000000781C: BF068058
	s_cselect_b32 s61, 1, 4                                    // 000000007820: 853D8481
	s_mul_i32 s60, s61, s60                                    // 000000007824: 923C3C3D
	v_readlane_b32 s82, v3, 0                                  // 000000007828: D2890052 00010103
	s_lshr_b32 s61, s82, 24                                    // 000000007830: 8F3D9852
	s_and_b32 s82, s82, 0xffffff                               // 000000007834: 8652FF52 00FFFFFF
	s_mul_i32 s82, s82, s71                                    // 00000000783C: 92524752
	s_mul_i32 s61, s60, s61                                    // 000000007840: 923D3D3C
	s_add_u32 s82, s82, s61                                    // 000000007844: 80523D52
	v_mul_lo_u32 v6, v5, s82                                   // 000000007848: D2850006 0000A505
	v_readlane_b32 s82, v3, 1                                  // 000000007850: D2890052 00010303
	s_lshr_b32 s61, s82, 24                                    // 000000007858: 8F3D9852
	s_and_b32 s82, s82, 0xffffff                               // 00000000785C: 8652FF52 00FFFFFF
	s_mul_i32 s82, s82, s71                                    // 000000007864: 92524752
	s_mul_i32 s61, s60, s61                                    // 000000007868: 923D3D3C
	s_add_u32 s82, s82, s61                                    // 00000000786C: 80523D52
	v_mul_lo_u32 v7, v4, s82                                   // 000000007870: D2850007 0000A504
	v_add_u32_e32 v44, v6, v7                                  // 000000007878: 68580F06
	v_readlane_b32 s82, v3, 2                                  // 00000000787C: D2890052 00010503
	s_lshr_b32 s61, s82, 24                                    // 000000007884: 8F3D9852
	s_and_b32 s82, s82, 0xffffff                               // 000000007888: 8652FF52 00FFFFFF
	s_mul_i32 s82, s82, s71                                    // 000000007890: 92524752
	s_mul_i32 s61, s60, s61                                    // 000000007894: 923D3D3C
	s_add_u32 s82, s82, s61                                    // 000000007898: 80523D52
	v_mul_lo_u32 v6, v5, s82                                   // 00000000789C: D2850006 0000A505
	v_readlane_b32 s82, v3, 3                                  // 0000000078A4: D2890052 00010703
	s_lshr_b32 s61, s82, 24                                    // 0000000078AC: 8F3D9852
	s_and_b32 s82, s82, 0xffffff                               // 0000000078B0: 8652FF52 00FFFFFF
	s_mul_i32 s82, s82, s71                                    // 0000000078B8: 92524752
	s_mul_i32 s61, s60, s61                                    // 0000000078BC: 923D3D3C
	s_add_u32 s82, s82, s61                                    // 0000000078C0: 80523D52
	v_mul_lo_u32 v7, v4, s82                                   // 0000000078C4: D2850007 0000A504
	v_add_u32_e32 v45, v6, v7                                  // 0000000078CC: 685A0F06
	v_readlane_b32 s82, v3, 4                                  // 0000000078D0: D2890052 00010903
	s_lshr_b32 s61, s82, 24                                    // 0000000078D8: 8F3D9852
	s_and_b32 s82, s82, 0xffffff                               // 0000000078DC: 8652FF52 00FFFFFF
	s_mul_i32 s82, s82, s71                                    // 0000000078E4: 92524752
	s_mul_i32 s61, s60, s61                                    // 0000000078E8: 923D3D3C
	s_add_u32 s82, s82, s61                                    // 0000000078EC: 80523D52
	v_mul_lo_u32 v6, v5, s82                                   // 0000000078F0: D2850006 0000A505
	v_readlane_b32 s82, v3, 5                                  // 0000000078F8: D2890052 00010B03
	s_lshr_b32 s61, s82, 24                                    // 000000007900: 8F3D9852
	s_and_b32 s82, s82, 0xffffff                               // 000000007904: 8652FF52 00FFFFFF
	s_mul_i32 s82, s82, s71                                    // 00000000790C: 92524752
	s_mul_i32 s61, s60, s61                                    // 000000007910: 923D3D3C
	s_add_u32 s82, s82, s61                                    // 000000007914: 80523D52
	v_mul_lo_u32 v7, v4, s82                                   // 000000007918: D2850007 0000A504
	v_add_u32_e32 v46, v6, v7                                  // 000000007920: 685C0F06
	v_readlane_b32 s82, v3, 6                                  // 000000007924: D2890052 00010D03
	s_lshr_b32 s61, s82, 24                                    // 00000000792C: 8F3D9852
	s_and_b32 s82, s82, 0xffffff                               // 000000007930: 8652FF52 00FFFFFF
	s_mul_i32 s82, s82, s71                                    // 000000007938: 92524752
	s_mul_i32 s61, s60, s61                                    // 00000000793C: 923D3D3C
	s_add_u32 s82, s82, s61                                    // 000000007940: 80523D52
	v_mul_lo_u32 v6, v5, s82                                   // 000000007944: D2850006 0000A505
	v_readlane_b32 s82, v3, 7                                  // 00000000794C: D2890052 00010F03
	s_lshr_b32 s61, s82, 24                                    // 000000007954: 8F3D9852
	s_and_b32 s82, s82, 0xffffff                               // 000000007958: 8652FF52 00FFFFFF
	s_mul_i32 s82, s82, s71                                    // 000000007960: 92524752
	s_mul_i32 s61, s60, s61                                    // 000000007964: 923D3D3C
	s_add_u32 s82, s82, s61                                    // 000000007968: 80523D52
	v_mul_lo_u32 v7, v4, s82                                   // 00000000796C: D2850007 0000A504
	v_add_u32_e32 v47, v6, v7                                  // 000000007974: 685E0F06
	v_readlane_b32 s82, v3, 8                                  // 000000007978: D2890052 00011103
	s_lshr_b32 s61, s82, 24                                    // 000000007980: 8F3D9852
	s_and_b32 s82, s82, 0xffffff                               // 000000007984: 8652FF52 00FFFFFF
	s_mul_i32 s82, s82, s71                                    // 00000000798C: 92524752
	s_mul_i32 s61, s60, s61                                    // 000000007990: 923D3D3C
	s_add_u32 s82, s82, s61                                    // 000000007994: 80523D52
	v_mul_lo_u32 v6, v5, s82                                   // 000000007998: D2850006 0000A505
	v_readlane_b32 s82, v3, 9                                  // 0000000079A0: D2890052 00011303
	s_lshr_b32 s61, s82, 24                                    // 0000000079A8: 8F3D9852
	s_and_b32 s82, s82, 0xffffff                               // 0000000079AC: 8652FF52 00FFFFFF
	s_mul_i32 s82, s82, s71                                    // 0000000079B4: 92524752
	s_mul_i32 s61, s60, s61                                    // 0000000079B8: 923D3D3C
	s_add_u32 s82, s82, s61                                    // 0000000079BC: 80523D52
	v_mul_lo_u32 v7, v4, s82                                   // 0000000079C0: D2850007 0000A504
	v_add_u32_e32 v48, v6, v7                                  // 0000000079C8: 68600F06
	v_readlane_b32 s82, v3, 10                                 // 0000000079CC: D2890052 00011503
	s_lshr_b32 s61, s82, 24                                    // 0000000079D4: 8F3D9852
	s_and_b32 s82, s82, 0xffffff                               // 0000000079D8: 8652FF52 00FFFFFF
	s_mul_i32 s82, s82, s71                                    // 0000000079E0: 92524752
	s_mul_i32 s61, s60, s61                                    // 0000000079E4: 923D3D3C
	s_add_u32 s82, s82, s61                                    // 0000000079E8: 80523D52
	v_mul_lo_u32 v6, v5, s82                                   // 0000000079EC: D2850006 0000A505
	v_readlane_b32 s82, v3, 11                                 // 0000000079F4: D2890052 00011703
	s_lshr_b32 s61, s82, 24                                    // 0000000079FC: 8F3D9852
	s_and_b32 s82, s82, 0xffffff                               // 000000007A00: 8652FF52 00FFFFFF
	s_mul_i32 s82, s82, s71                                    // 000000007A08: 92524752
	s_mul_i32 s61, s60, s61                                    // 000000007A0C: 923D3D3C
	s_add_u32 s82, s82, s61                                    // 000000007A10: 80523D52
	v_mul_lo_u32 v7, v4, s82                                   // 000000007A14: D2850007 0000A504
	v_add_u32_e32 v49, v6, v7                                  // 000000007A1C: 68620F06
	v_readlane_b32 s82, v3, 12                                 // 000000007A20: D2890052 00011903
	s_lshr_b32 s61, s82, 24                                    // 000000007A28: 8F3D9852
	s_and_b32 s82, s82, 0xffffff                               // 000000007A2C: 8652FF52 00FFFFFF
	s_mul_i32 s82, s82, s71                                    // 000000007A34: 92524752
	s_mul_i32 s61, s60, s61                                    // 000000007A38: 923D3D3C
	s_add_u32 s82, s82, s61                                    // 000000007A3C: 80523D52
	v_mul_lo_u32 v6, v5, s82                                   // 000000007A40: D2850006 0000A505
	v_readlane_b32 s82, v3, 13                                 // 000000007A48: D2890052 00011B03
	s_lshr_b32 s61, s82, 24                                    // 000000007A50: 8F3D9852
	s_and_b32 s82, s82, 0xffffff                               // 000000007A54: 8652FF52 00FFFFFF
	s_mul_i32 s82, s82, s71                                    // 000000007A5C: 92524752
	s_mul_i32 s61, s60, s61                                    // 000000007A60: 923D3D3C
	s_add_u32 s82, s82, s61                                    // 000000007A64: 80523D52
	v_mul_lo_u32 v7, v4, s82                                   // 000000007A68: D2850007 0000A504
	v_add_u32_e32 v50, v6, v7                                  // 000000007A70: 68640F06
	v_readlane_b32 s82, v3, 14                                 // 000000007A74: D2890052 00011D03
	s_lshr_b32 s61, s82, 24                                    // 000000007A7C: 8F3D9852
	s_and_b32 s82, s82, 0xffffff                               // 000000007A80: 8652FF52 00FFFFFF
	s_mul_i32 s82, s82, s71                                    // 000000007A88: 92524752
	s_mul_i32 s61, s60, s61                                    // 000000007A8C: 923D3D3C
	s_add_u32 s82, s82, s61                                    // 000000007A90: 80523D52
	v_mul_lo_u32 v6, v5, s82                                   // 000000007A94: D2850006 0000A505
	v_readlane_b32 s82, v3, 15                                 // 000000007A9C: D2890052 00011F03
	s_lshr_b32 s61, s82, 24                                    // 000000007AA4: 8F3D9852
	s_and_b32 s82, s82, 0xffffff                               // 000000007AA8: 8652FF52 00FFFFFF
	s_mul_i32 s82, s82, s71                                    // 000000007AB0: 92524752
	s_mul_i32 s61, s60, s61                                    // 000000007AB4: 923D3D3C
	s_add_u32 s82, s82, s61                                    // 000000007AB8: 80523D52
	v_mul_lo_u32 v7, v4, s82                                   // 000000007ABC: D2850007 0000A504
	v_add_u32_e32 v51, v6, v7                                  // 000000007AC4: 68660F06
	v_and_b32_e32 v4, 31, v0                                   // 000000007AC8: 2608009F
	v_lshrrev_b32_e32 v4, 1, v4                                // 000000007ACC: 20080881
	s_cmp_eq_u32 s88, 0                                        // 000000007AD0: BF068058
	s_cselect_b32 s61, 2, 4                                    // 000000007AD4: 853D8482
	v_mul_lo_u32 v4, v4, s61                                   // 000000007AD8: D2850004 00007B04
	v_and_b32_e64 v5, v0, 1                                    // 000000007AE0: D1130005 00010300
	v_add_u32_e32 v4, v4, v5                                   // 000000007AE8: 68080B04
	v_lshlrev_b32_e32 v4, 2, v4                                // 000000007AEC: 24080882
	v_add_u32_e32 v44, v44, v4                                 // 000000007AF0: 6858092C
	v_add_u32_e32 v45, v45, v4                                 // 000000007AF4: 685A092D
	v_add_u32_e32 v46, v46, v4                                 // 000000007AF8: 685C092E
	v_add_u32_e32 v47, v47, v4                                 // 000000007AFC: 685E092F
	v_add_u32_e32 v48, v48, v4                                 // 000000007B00: 68600930
	v_add_u32_e32 v49, v49, v4                                 // 000000007B04: 68620931
	v_add_u32_e32 v50, v50, v4                                 // 000000007B08: 68640932
	v_add_u32_e32 v51, v51, v4                                 // 000000007B0C: 68660933
	s_waitcnt lgkmcnt(0)                                       // 000000007B10: BF8CC07F
	s_barrier                                                  // 000000007B14: BF8A0000
	ds_read_b32 v56, v21                                       // 000000007B18: D86C0000 38000015
	ds_read_b32 v57, v21 offset:64                             // 000000007B20: D86C0040 39000015
	ds_read_b32 v58, v21 offset:2176                           // 000000007B28: D86C0880 3A000015
	ds_read_b32 v59, v21 offset:2240                           // 000000007B30: D86C08C0 3B000015
	ds_read_b32 v60, v21 offset:4352                           // 000000007B38: D86C1100 3C000015
	ds_read_b32 v61, v21 offset:4416                           // 000000007B40: D86C1140 3D000015
	ds_read_b32 v62, v21 offset:6528                           // 000000007B48: D86C1980 3E000015
	ds_read_b32 v63, v21 offset:6592                           // 000000007B50: D86C19C0 3F000015
	ds_read_b32 v64, v21 offset:8704                           // 000000007B58: D86C2200 40000015
	ds_read_b32 v65, v21 offset:8768                           // 000000007B60: D86C2240 41000015
	ds_read_b32 v66, v21 offset:10880                          // 000000007B68: D86C2A80 42000015
	ds_read_b32 v67, v21 offset:10944                          // 000000007B70: D86C2AC0 43000015
	ds_read_b32 v68, v21 offset:13056                          // 000000007B78: D86C3300 44000015
	ds_read_b32 v69, v21 offset:13120                          // 000000007B80: D86C3340 45000015
	ds_read_b32 v70, v21 offset:15232                          // 000000007B88: D86C3B80 46000015
	ds_read_b32 v71, v21 offset:15296                          // 000000007B90: D86C3BC0 47000015
	s_waitcnt lgkmcnt(0)                                       // 000000007B98: BF8CC07F
	s_mov_b32 s36, -1                                          // 000000007B9C: BEA400C1
	s_mov_b32 s37, -1                                          // 000000007BA0: BEA500C1
	v_mov_b32_e32 v7, 0                                        // 000000007BA4: 7E0E0280
	s_or_b32 s9, s9, 0x40000                                   // 000000007BA8: 8709FF09 00040000
	s_mov_b64 exec, s[36:37]                                   // 000000007BB0: BEFE0124
	v_mov_b32_e32 v6, v44                                      // 000000007BB4: 7E0C032C
	s_mov_b64 s[60:61], 0                                      // 000000007BB8: BEBC0180
	v_readlane_b32 s82, v3, 0                                  // 000000007BBC: D2890052 00010103
	s_and_b32 s82, s82, 0xffffff                               // 000000007BC4: 8652FF52 00FFFFFF
	s_cmp_lt_u32 s82, s66                                      // 000000007BCC: BF0A4252
	s_cselect_b32 s20, s36, s60                                // 000000007BD0: 85143C24
	v_readlane_b32 s82, v3, 1                                  // 000000007BD4: D2890052 00010303
	s_and_b32 s82, s82, 0xffffff                               // 000000007BDC: 8652FF52 00FFFFFF
	s_cmp_lt_u32 s82, s66                                      // 000000007BE4: BF0A4252
	s_cselect_b32 s21, s36, s60                                // 000000007BE8: 85153C24
	s_mov_b64 exec, s[20:21]                                   // 000000007BEC: BEFE0114
	buffer_store_dword v56, v6, s[8:11], 0 offen               // 000000007BF0: E0701000 80023806
	buffer_store_dword v58, v6, s[8:11], 0 offen offset:128    // 000000007BF8: E0701080 80023A06
	s_mov_b64 exec, s[36:37]                                   // 000000007C00: BEFE0124
	v_mov_b32_e32 v6, v45                                      // 000000007C04: 7E0C032D
	s_mov_b64 s[60:61], 0                                      // 000000007C08: BEBC0180
	v_readlane_b32 s82, v3, 2                                  // 000000007C0C: D2890052 00010503
	s_and_b32 s82, s82, 0xffffff                               // 000000007C14: 8652FF52 00FFFFFF
	s_cmp_lt_u32 s82, s66                                      // 000000007C1C: BF0A4252
	s_cselect_b32 s20, s36, s60                                // 000000007C20: 85143C24
	v_readlane_b32 s82, v3, 3                                  // 000000007C24: D2890052 00010703
	s_and_b32 s82, s82, 0xffffff                               // 000000007C2C: 8652FF52 00FFFFFF
	s_cmp_lt_u32 s82, s66                                      // 000000007C34: BF0A4252
	s_cselect_b32 s21, s36, s60                                // 000000007C38: 85153C24
	s_mov_b64 exec, s[20:21]                                   // 000000007C3C: BEFE0114
	buffer_store_dword v57, v6, s[8:11], 0 offen               // 000000007C40: E0701000 80023906
	buffer_store_dword v59, v6, s[8:11], 0 offen offset:128    // 000000007C48: E0701080 80023B06
	s_mov_b64 exec, s[36:37]                                   // 000000007C50: BEFE0124
	v_mov_b32_e32 v6, v46                                      // 000000007C54: 7E0C032E
	s_mov_b64 s[60:61], 0                                      // 000000007C58: BEBC0180
	v_readlane_b32 s82, v3, 4                                  // 000000007C5C: D2890052 00010903
	s_and_b32 s82, s82, 0xffffff                               // 000000007C64: 8652FF52 00FFFFFF
	s_cmp_lt_u32 s82, s66                                      // 000000007C6C: BF0A4252
	s_cselect_b32 s20, s36, s60                                // 000000007C70: 85143C24
	v_readlane_b32 s82, v3, 5                                  // 000000007C74: D2890052 00010B03
	s_and_b32 s82, s82, 0xffffff                               // 000000007C7C: 8652FF52 00FFFFFF
	s_cmp_lt_u32 s82, s66                                      // 000000007C84: BF0A4252
	s_cselect_b32 s21, s36, s60                                // 000000007C88: 85153C24
	s_mov_b64 exec, s[20:21]                                   // 000000007C8C: BEFE0114
	buffer_store_dword v60, v6, s[8:11], 0 offen               // 000000007C90: E0701000 80023C06
	buffer_store_dword v62, v6, s[8:11], 0 offen offset:128    // 000000007C98: E0701080 80023E06
	s_mov_b64 exec, s[36:37]                                   // 000000007CA0: BEFE0124
	v_mov_b32_e32 v6, v47                                      // 000000007CA4: 7E0C032F
	s_mov_b64 s[60:61], 0                                      // 000000007CA8: BEBC0180
	v_readlane_b32 s82, v3, 6                                  // 000000007CAC: D2890052 00010D03
	s_and_b32 s82, s82, 0xffffff                               // 000000007CB4: 8652FF52 00FFFFFF
	s_cmp_lt_u32 s82, s66                                      // 000000007CBC: BF0A4252
	s_cselect_b32 s20, s36, s60                                // 000000007CC0: 85143C24
	v_readlane_b32 s82, v3, 7                                  // 000000007CC4: D2890052 00010F03
	s_and_b32 s82, s82, 0xffffff                               // 000000007CCC: 8652FF52 00FFFFFF
	s_cmp_lt_u32 s82, s66                                      // 000000007CD4: BF0A4252
	s_cselect_b32 s21, s36, s60                                // 000000007CD8: 85153C24
	s_mov_b64 exec, s[20:21]                                   // 000000007CDC: BEFE0114
	buffer_store_dword v61, v6, s[8:11], 0 offen               // 000000007CE0: E0701000 80023D06
	buffer_store_dword v63, v6, s[8:11], 0 offen offset:128    // 000000007CE8: E0701080 80023F06
	s_mov_b64 exec, s[36:37]                                   // 000000007CF0: BEFE0124
	v_mov_b32_e32 v6, v48                                      // 000000007CF4: 7E0C0330
	s_mov_b64 s[60:61], 0                                      // 000000007CF8: BEBC0180
	v_readlane_b32 s82, v3, 8                                  // 000000007CFC: D2890052 00011103
	s_and_b32 s82, s82, 0xffffff                               // 000000007D04: 8652FF52 00FFFFFF
	s_cmp_lt_u32 s82, s66                                      // 000000007D0C: BF0A4252
	s_cselect_b32 s20, s36, s60                                // 000000007D10: 85143C24
	v_readlane_b32 s82, v3, 9                                  // 000000007D14: D2890052 00011303
	s_and_b32 s82, s82, 0xffffff                               // 000000007D1C: 8652FF52 00FFFFFF
	s_cmp_lt_u32 s82, s66                                      // 000000007D24: BF0A4252
	s_cselect_b32 s21, s36, s60                                // 000000007D28: 85153C24
	s_mov_b64 exec, s[20:21]                                   // 000000007D2C: BEFE0114
	buffer_store_dword v64, v6, s[8:11], 0 offen               // 000000007D30: E0701000 80024006
	buffer_store_dword v66, v6, s[8:11], 0 offen offset:128    // 000000007D38: E0701080 80024206
	s_mov_b64 exec, s[36:37]                                   // 000000007D40: BEFE0124
	v_mov_b32_e32 v6, v49                                      // 000000007D44: 7E0C0331
	s_mov_b64 s[60:61], 0                                      // 000000007D48: BEBC0180
	v_readlane_b32 s82, v3, 10                                 // 000000007D4C: D2890052 00011503
	s_and_b32 s82, s82, 0xffffff                               // 000000007D54: 8652FF52 00FFFFFF
	s_cmp_lt_u32 s82, s66                                      // 000000007D5C: BF0A4252
	s_cselect_b32 s20, s36, s60                                // 000000007D60: 85143C24
	v_readlane_b32 s82, v3, 11                                 // 000000007D64: D2890052 00011703
	s_and_b32 s82, s82, 0xffffff                               // 000000007D6C: 8652FF52 00FFFFFF
	s_cmp_lt_u32 s82, s66                                      // 000000007D74: BF0A4252
	s_cselect_b32 s21, s36, s60                                // 000000007D78: 85153C24
	s_mov_b64 exec, s[20:21]                                   // 000000007D7C: BEFE0114
	buffer_store_dword v65, v6, s[8:11], 0 offen               // 000000007D80: E0701000 80024106
	buffer_store_dword v67, v6, s[8:11], 0 offen offset:128    // 000000007D88: E0701080 80024306
	s_mov_b64 exec, s[36:37]                                   // 000000007D90: BEFE0124
	v_mov_b32_e32 v6, v50                                      // 000000007D94: 7E0C0332
	s_mov_b64 s[60:61], 0                                      // 000000007D98: BEBC0180
	v_readlane_b32 s82, v3, 12                                 // 000000007D9C: D2890052 00011903
	s_and_b32 s82, s82, 0xffffff                               // 000000007DA4: 8652FF52 00FFFFFF
	s_cmp_lt_u32 s82, s66                                      // 000000007DAC: BF0A4252
	s_cselect_b32 s20, s36, s60                                // 000000007DB0: 85143C24
	v_readlane_b32 s82, v3, 13                                 // 000000007DB4: D2890052 00011B03
	s_and_b32 s82, s82, 0xffffff                               // 000000007DBC: 8652FF52 00FFFFFF
	s_cmp_lt_u32 s82, s66                                      // 000000007DC4: BF0A4252
	s_cselect_b32 s21, s36, s60                                // 000000007DC8: 85153C24
	s_mov_b64 exec, s[20:21]                                   // 000000007DCC: BEFE0114
	buffer_store_dword v68, v6, s[8:11], 0 offen               // 000000007DD0: E0701000 80024406
	buffer_store_dword v70, v6, s[8:11], 0 offen offset:128    // 000000007DD8: E0701080 80024606
	s_mov_b64 exec, s[36:37]                                   // 000000007DE0: BEFE0124
	v_mov_b32_e32 v6, v51                                      // 000000007DE4: 7E0C0333
	s_mov_b64 s[60:61], 0                                      // 000000007DE8: BEBC0180
	v_readlane_b32 s82, v3, 14                                 // 000000007DEC: D2890052 00011D03
	s_and_b32 s82, s82, 0xffffff                               // 000000007DF4: 8652FF52 00FFFFFF
	s_cmp_lt_u32 s82, s66                                      // 000000007DFC: BF0A4252
	s_cselect_b32 s20, s36, s60                                // 000000007E00: 85143C24
	v_readlane_b32 s82, v3, 15                                 // 000000007E04: D2890052 00011F03
	s_and_b32 s82, s82, 0xffffff                               // 000000007E0C: 8652FF52 00FFFFFF
	s_cmp_lt_u32 s82, s66                                      // 000000007E14: BF0A4252
	s_cselect_b32 s21, s36, s60                                // 000000007E18: 85153C24
	s_mov_b64 exec, s[20:21]                                   // 000000007E1C: BEFE0114
	buffer_store_dword v69, v6, s[8:11], 0 offen               // 000000007E20: E0701000 80024506
	buffer_store_dword v71, v6, s[8:11], 0 offen offset:128    // 000000007E28: E0701080 80024706
	s_mov_b64 exec, s[36:37]                                   // 000000007E30: BEFE0124
	s_branch label_192B                                        // 000000007E34: BF82041A

0000000000007e38 <label_1511>:
	ds_write_b64 v20, v[56:57]                                 // 000000007E38: D89A0000 00003814
	ds_write_b64 v20, v[60:61] offset:4352                     // 000000007E40: D89A1100 00003C14
	ds_write_b64 v20, v[64:65] offset:8704                     // 000000007E48: D89A2200 00004014
	ds_write_b64 v20, v[68:69] offset:13056                    // 000000007E50: D89A3300 00004414
	ds_write_b64 v20, v[72:73] offset:2176                     // 000000007E58: D89A0880 00004814
	ds_write_b64 v20, v[76:77] offset:6528                     // 000000007E60: D89A1980 00004C14
	ds_write_b64 v20, v[80:81] offset:10880                    // 000000007E68: D89A2A80 00005014
	ds_write_b64 v20, v[84:85] offset:15232                    // 000000007E70: D89A3B80 00005414
	v_lshrrev_b32_e32 v4, 5, v0                                // 000000007E78: 20080085
	v_xor_b32_e32 v5, 1, v4                                    // 000000007E7C: 2A0A0881
	s_mul_i32 s60, s65, 2                                      // 000000007E80: 923C8241
	s_cmp_eq_u32 s88, 0                                        // 000000007E84: BF068058
	s_cselect_b32 s61, 1, 4                                    // 000000007E88: 853D8481
	s_mul_i32 s60, s61, s60                                    // 000000007E8C: 923C3C3D
	v_readlane_b32 s82, v3, 0                                  // 000000007E90: D2890052 00010103
	s_lshr_b32 s61, s82, 24                                    // 000000007E98: 8F3D9852
	s_and_b32 s82, s82, 0xffffff                               // 000000007E9C: 8652FF52 00FFFFFF
	s_mul_i32 s82, s82, s71                                    // 000000007EA4: 92524752
	s_mul_i32 s61, s60, s61                                    // 000000007EA8: 923D3D3C
	s_add_u32 s82, s82, s61                                    // 000000007EAC: 80523D52
	v_mul_lo_u32 v6, v5, s82                                   // 000000007EB0: D2850006 0000A505
	v_readlane_b32 s82, v3, 1                                  // 000000007EB8: D2890052 00010303
	s_lshr_b32 s61, s82, 24                                    // 000000007EC0: 8F3D9852
	s_and_b32 s82, s82, 0xffffff                               // 000000007EC4: 8652FF52 00FFFFFF
	s_mul_i32 s82, s82, s71                                    // 000000007ECC: 92524752
	s_mul_i32 s61, s60, s61                                    // 000000007ED0: 923D3D3C
	s_add_u32 s82, s82, s61                                    // 000000007ED4: 80523D52
	v_mul_lo_u32 v7, v4, s82                                   // 000000007ED8: D2850007 0000A504
	v_add_u32_e32 v44, v6, v7                                  // 000000007EE0: 68580F06
	v_readlane_b32 s82, v3, 2                                  // 000000007EE4: D2890052 00010503
	s_lshr_b32 s61, s82, 24                                    // 000000007EEC: 8F3D9852
	s_and_b32 s82, s82, 0xffffff                               // 000000007EF0: 8652FF52 00FFFFFF
	s_mul_i32 s82, s82, s71                                    // 000000007EF8: 92524752
	s_mul_i32 s61, s60, s61                                    // 000000007EFC: 923D3D3C
	s_add_u32 s82, s82, s61                                    // 000000007F00: 80523D52
	v_mul_lo_u32 v6, v5, s82                                   // 000000007F04: D2850006 0000A505
	v_readlane_b32 s82, v3, 3                                  // 000000007F0C: D2890052 00010703
	s_lshr_b32 s61, s82, 24                                    // 000000007F14: 8F3D9852
	s_and_b32 s82, s82, 0xffffff                               // 000000007F18: 8652FF52 00FFFFFF
	s_mul_i32 s82, s82, s71                                    // 000000007F20: 92524752
	s_mul_i32 s61, s60, s61                                    // 000000007F24: 923D3D3C
	s_add_u32 s82, s82, s61                                    // 000000007F28: 80523D52
	v_mul_lo_u32 v7, v4, s82                                   // 000000007F2C: D2850007 0000A504
	v_add_u32_e32 v45, v6, v7                                  // 000000007F34: 685A0F06
	v_readlane_b32 s82, v3, 4                                  // 000000007F38: D2890052 00010903
	s_lshr_b32 s61, s82, 24                                    // 000000007F40: 8F3D9852
	s_and_b32 s82, s82, 0xffffff                               // 000000007F44: 8652FF52 00FFFFFF
	s_mul_i32 s82, s82, s71                                    // 000000007F4C: 92524752
	s_mul_i32 s61, s60, s61                                    // 000000007F50: 923D3D3C
	s_add_u32 s82, s82, s61                                    // 000000007F54: 80523D52
	v_mul_lo_u32 v6, v5, s82                                   // 000000007F58: D2850006 0000A505
	v_readlane_b32 s82, v3, 5                                  // 000000007F60: D2890052 00010B03
	s_lshr_b32 s61, s82, 24                                    // 000000007F68: 8F3D9852
	s_and_b32 s82, s82, 0xffffff                               // 000000007F6C: 8652FF52 00FFFFFF
	s_mul_i32 s82, s82, s71                                    // 000000007F74: 92524752
	s_mul_i32 s61, s60, s61                                    // 000000007F78: 923D3D3C
	s_add_u32 s82, s82, s61                                    // 000000007F7C: 80523D52
	v_mul_lo_u32 v7, v4, s82                                   // 000000007F80: D2850007 0000A504
	v_add_u32_e32 v46, v6, v7                                  // 000000007F88: 685C0F06
	v_readlane_b32 s82, v3, 6                                  // 000000007F8C: D2890052 00010D03
	s_lshr_b32 s61, s82, 24                                    // 000000007F94: 8F3D9852
	s_and_b32 s82, s82, 0xffffff                               // 000000007F98: 8652FF52 00FFFFFF
	s_mul_i32 s82, s82, s71                                    // 000000007FA0: 92524752
	s_mul_i32 s61, s60, s61                                    // 000000007FA4: 923D3D3C
	s_add_u32 s82, s82, s61                                    // 000000007FA8: 80523D52
	v_mul_lo_u32 v6, v5, s82                                   // 000000007FAC: D2850006 0000A505
	v_readlane_b32 s82, v3, 7                                  // 000000007FB4: D2890052 00010F03
	s_lshr_b32 s61, s82, 24                                    // 000000007FBC: 8F3D9852
	s_and_b32 s82, s82, 0xffffff                               // 000000007FC0: 8652FF52 00FFFFFF
	s_mul_i32 s82, s82, s71                                    // 000000007FC8: 92524752
	s_mul_i32 s61, s60, s61                                    // 000000007FCC: 923D3D3C
	s_add_u32 s82, s82, s61                                    // 000000007FD0: 80523D52
	v_mul_lo_u32 v7, v4, s82                                   // 000000007FD4: D2850007 0000A504
	v_add_u32_e32 v47, v6, v7                                  // 000000007FDC: 685E0F06
	v_readlane_b32 s82, v3, 8                                  // 000000007FE0: D2890052 00011103
	s_lshr_b32 s61, s82, 24                                    // 000000007FE8: 8F3D9852
	s_and_b32 s82, s82, 0xffffff                               // 000000007FEC: 8652FF52 00FFFFFF
	s_mul_i32 s82, s82, s71                                    // 000000007FF4: 92524752
	s_mul_i32 s61, s60, s61                                    // 000000007FF8: 923D3D3C
	s_add_u32 s82, s82, s61                                    // 000000007FFC: 80523D52
	v_mul_lo_u32 v6, v5, s82                                   // 000000008000: D2850006 0000A505
	v_readlane_b32 s82, v3, 9                                  // 000000008008: D2890052 00011303
	s_lshr_b32 s61, s82, 24                                    // 000000008010: 8F3D9852
	s_and_b32 s82, s82, 0xffffff                               // 000000008014: 8652FF52 00FFFFFF
	s_mul_i32 s82, s82, s71                                    // 00000000801C: 92524752
	s_mul_i32 s61, s60, s61                                    // 000000008020: 923D3D3C
	s_add_u32 s82, s82, s61                                    // 000000008024: 80523D52
	v_mul_lo_u32 v7, v4, s82                                   // 000000008028: D2850007 0000A504
	v_add_u32_e32 v48, v6, v7                                  // 000000008030: 68600F06
	v_readlane_b32 s82, v3, 10                                 // 000000008034: D2890052 00011503
	s_lshr_b32 s61, s82, 24                                    // 00000000803C: 8F3D9852
	s_and_b32 s82, s82, 0xffffff                               // 000000008040: 8652FF52 00FFFFFF
	s_mul_i32 s82, s82, s71                                    // 000000008048: 92524752
	s_mul_i32 s61, s60, s61                                    // 00000000804C: 923D3D3C
	s_add_u32 s82, s82, s61                                    // 000000008050: 80523D52
	v_mul_lo_u32 v6, v5, s82                                   // 000000008054: D2850006 0000A505
	v_readlane_b32 s82, v3, 11                                 // 00000000805C: D2890052 00011703
	s_lshr_b32 s61, s82, 24                                    // 000000008064: 8F3D9852
	s_and_b32 s82, s82, 0xffffff                               // 000000008068: 8652FF52 00FFFFFF
	s_mul_i32 s82, s82, s71                                    // 000000008070: 92524752
	s_mul_i32 s61, s60, s61                                    // 000000008074: 923D3D3C
	s_add_u32 s82, s82, s61                                    // 000000008078: 80523D52
	v_mul_lo_u32 v7, v4, s82                                   // 00000000807C: D2850007 0000A504
	v_add_u32_e32 v49, v6, v7                                  // 000000008084: 68620F06
	v_readlane_b32 s82, v3, 12                                 // 000000008088: D2890052 00011903
	s_lshr_b32 s61, s82, 24                                    // 000000008090: 8F3D9852
	s_and_b32 s82, s82, 0xffffff                               // 000000008094: 8652FF52 00FFFFFF
	s_mul_i32 s82, s82, s71                                    // 00000000809C: 92524752
	s_mul_i32 s61, s60, s61                                    // 0000000080A0: 923D3D3C
	s_add_u32 s82, s82, s61                                    // 0000000080A4: 80523D52
	v_mul_lo_u32 v6, v5, s82                                   // 0000000080A8: D2850006 0000A505
	v_readlane_b32 s82, v3, 13                                 // 0000000080B0: D2890052 00011B03
	s_lshr_b32 s61, s82, 24                                    // 0000000080B8: 8F3D9852
	s_and_b32 s82, s82, 0xffffff                               // 0000000080BC: 8652FF52 00FFFFFF
	s_mul_i32 s82, s82, s71                                    // 0000000080C4: 92524752
	s_mul_i32 s61, s60, s61                                    // 0000000080C8: 923D3D3C
	s_add_u32 s82, s82, s61                                    // 0000000080CC: 80523D52
	v_mul_lo_u32 v7, v4, s82                                   // 0000000080D0: D2850007 0000A504
	v_add_u32_e32 v50, v6, v7                                  // 0000000080D8: 68640F06
	v_readlane_b32 s82, v3, 14                                 // 0000000080DC: D2890052 00011D03
	s_lshr_b32 s61, s82, 24                                    // 0000000080E4: 8F3D9852
	s_and_b32 s82, s82, 0xffffff                               // 0000000080E8: 8652FF52 00FFFFFF
	s_mul_i32 s82, s82, s71                                    // 0000000080F0: 92524752
	s_mul_i32 s61, s60, s61                                    // 0000000080F4: 923D3D3C
	s_add_u32 s82, s82, s61                                    // 0000000080F8: 80523D52
	v_mul_lo_u32 v6, v5, s82                                   // 0000000080FC: D2850006 0000A505
	v_readlane_b32 s82, v3, 15                                 // 000000008104: D2890052 00011F03
	s_lshr_b32 s61, s82, 24                                    // 00000000810C: 8F3D9852
	s_and_b32 s82, s82, 0xffffff                               // 000000008110: 8652FF52 00FFFFFF
	s_mul_i32 s82, s82, s71                                    // 000000008118: 92524752
	s_mul_i32 s61, s60, s61                                    // 00000000811C: 923D3D3C
	s_add_u32 s82, s82, s61                                    // 000000008120: 80523D52
	v_mul_lo_u32 v7, v4, s82                                   // 000000008124: D2850007 0000A504
	v_add_u32_e32 v51, v6, v7                                  // 00000000812C: 68660F06
	v_and_b32_e32 v4, 31, v0                                   // 000000008130: 2608009F
	v_lshrrev_b32_e32 v4, 1, v4                                // 000000008134: 20080881
	s_cmp_eq_u32 s88, 0                                        // 000000008138: BF068058
	s_cselect_b32 s61, 2, 4                                    // 00000000813C: 853D8482
	v_mul_lo_u32 v4, v4, s61                                   // 000000008140: D2850004 00007B04
	v_and_b32_e64 v5, v0, 1                                    // 000000008148: D1130005 00010300
	v_add_u32_e32 v4, v4, v5                                   // 000000008150: 68080B04
	v_lshlrev_b32_e32 v4, 2, v4                                // 000000008154: 24080882
	v_add_u32_e32 v44, v44, v4                                 // 000000008158: 6858092C
	v_add_u32_e32 v45, v45, v4                                 // 00000000815C: 685A092D
	v_add_u32_e32 v46, v46, v4                                 // 000000008160: 685C092E
	v_add_u32_e32 v47, v47, v4                                 // 000000008164: 685E092F
	v_add_u32_e32 v48, v48, v4                                 // 000000008168: 68600930
	v_add_u32_e32 v49, v49, v4                                 // 00000000816C: 68620931
	v_add_u32_e32 v50, v50, v4                                 // 000000008170: 68640932
	v_add_u32_e32 v51, v51, v4                                 // 000000008174: 68660933
	s_waitcnt lgkmcnt(0)                                       // 000000008178: BF8CC07F
	s_barrier                                                  // 00000000817C: BF8A0000
	ds_read_b32 v56, v21                                       // 000000008180: D86C0000 38000015
	ds_read_b32 v57, v21 offset:64                             // 000000008188: D86C0040 39000015
	ds_read_b32 v60, v21 offset:2176                           // 000000008190: D86C0880 3C000015
	ds_read_b32 v61, v21 offset:2240                           // 000000008198: D86C08C0 3D000015
	ds_read_b32 v64, v21 offset:4352                           // 0000000081A0: D86C1100 40000015
	ds_read_b32 v65, v21 offset:4416                           // 0000000081A8: D86C1140 41000015
	ds_read_b32 v68, v21 offset:6528                           // 0000000081B0: D86C1980 44000015
	ds_read_b32 v69, v21 offset:6592                           // 0000000081B8: D86C19C0 45000015
	ds_read_b32 v72, v21 offset:8704                           // 0000000081C0: D86C2200 48000015
	ds_read_b32 v73, v21 offset:8768                           // 0000000081C8: D86C2240 49000015
	ds_read_b32 v76, v21 offset:10880                          // 0000000081D0: D86C2A80 4C000015
	ds_read_b32 v77, v21 offset:10944                          // 0000000081D8: D86C2AC0 4D000015
	ds_read_b32 v80, v21 offset:13056                          // 0000000081E0: D86C3300 50000015
	ds_read_b32 v81, v21 offset:13120                          // 0000000081E8: D86C3340 51000015
	ds_read_b32 v84, v21 offset:15232                          // 0000000081F0: D86C3B80 54000015
	ds_read_b32 v85, v21 offset:15296                          // 0000000081F8: D86C3BC0 55000015
	s_waitcnt lgkmcnt(0)                                       // 000000008200: BF8CC07F
	s_mov_b32 s36, -1                                          // 000000008204: BEA400C1
	s_mov_b32 s37, -1                                          // 000000008208: BEA500C1
	v_mov_b32_e32 v7, 0                                        // 00000000820C: 7E0E0280
	s_mov_b64 exec, s[36:37]                                   // 000000008210: BEFE0124
	v_mov_b32_e32 v6, v44                                      // 000000008214: 7E0C032C
	s_mov_b64 s[60:61], 0                                      // 000000008218: BEBC0180
	v_readlane_b32 s82, v3, 0                                  // 00000000821C: D2890052 00010103
	s_and_b32 s82, s82, 0xffffff                               // 000000008224: 8652FF52 00FFFFFF
	s_cmp_lt_u32 s82, s66                                      // 00000000822C: BF0A4252
	s_cselect_b32 s20, s36, s60                                // 000000008230: 85143C24
	v_readlane_b32 s82, v3, 1                                  // 000000008234: D2890052 00010303
	s_and_b32 s82, s82, 0xffffff                               // 00000000823C: 8652FF52 00FFFFFF
	s_cmp_lt_u32 s82, s66                                      // 000000008244: BF0A4252
	s_cselect_b32 s21, s36, s60                                // 000000008248: 85153C24
	s_mov_b64 exec, s[20:21]                                   // 00000000824C: BEFE0114
	global_atomic_add_f32 v6, v56, s[8:9]                      // 000000008250: DD348000 00083806
	global_atomic_add_f32 v6, v60, s[8:9] offset:256           // 000000008258: DD348100 00083C06
	s_mov_b64 exec, s[36:37]                                   // 000000008260: BEFE0124
	v_mov_b32_e32 v6, v45                                      // 000000008264: 7E0C032D
	s_mov_b64 s[60:61], 0                                      // 000000008268: BEBC0180
	v_readlane_b32 s82, v3, 2                                  // 00000000826C: D2890052 00010503
	s_and_b32 s82, s82, 0xffffff                               // 000000008274: 8652FF52 00FFFFFF
	s_cmp_lt_u32 s82, s66                                      // 00000000827C: BF0A4252
	s_cselect_b32 s20, s36, s60                                // 000000008280: 85143C24
	v_readlane_b32 s82, v3, 3                                  // 000000008284: D2890052 00010703
	s_and_b32 s82, s82, 0xffffff                               // 00000000828C: 8652FF52 00FFFFFF
	s_cmp_lt_u32 s82, s66                                      // 000000008294: BF0A4252
	s_cselect_b32 s21, s36, s60                                // 000000008298: 85153C24
	s_mov_b64 exec, s[20:21]                                   // 00000000829C: BEFE0114
	global_atomic_add_f32 v6, v57, s[8:9]                      // 0000000082A0: DD348000 00083906
	global_atomic_add_f32 v6, v61, s[8:9] offset:256           // 0000000082A8: DD348100 00083D06
	s_mov_b64 exec, s[36:37]                                   // 0000000082B0: BEFE0124
	v_mov_b32_e32 v6, v46                                      // 0000000082B4: 7E0C032E
	s_mov_b64 s[60:61], 0                                      // 0000000082B8: BEBC0180
	v_readlane_b32 s82, v3, 4                                  // 0000000082BC: D2890052 00010903
	s_and_b32 s82, s82, 0xffffff                               // 0000000082C4: 8652FF52 00FFFFFF
	s_cmp_lt_u32 s82, s66                                      // 0000000082CC: BF0A4252
	s_cselect_b32 s20, s36, s60                                // 0000000082D0: 85143C24
	v_readlane_b32 s82, v3, 5                                  // 0000000082D4: D2890052 00010B03
	s_and_b32 s82, s82, 0xffffff                               // 0000000082DC: 8652FF52 00FFFFFF
	s_cmp_lt_u32 s82, s66                                      // 0000000082E4: BF0A4252
	s_cselect_b32 s21, s36, s60                                // 0000000082E8: 85153C24
	s_mov_b64 exec, s[20:21]                                   // 0000000082EC: BEFE0114
	global_atomic_add_f32 v6, v64, s[8:9]                      // 0000000082F0: DD348000 00084006
	global_atomic_add_f32 v6, v68, s[8:9] offset:256           // 0000000082F8: DD348100 00084406
	s_mov_b64 exec, s[36:37]                                   // 000000008300: BEFE0124
	v_mov_b32_e32 v6, v47                                      // 000000008304: 7E0C032F
	s_mov_b64 s[60:61], 0                                      // 000000008308: BEBC0180
	v_readlane_b32 s82, v3, 6                                  // 00000000830C: D2890052 00010D03
	s_and_b32 s82, s82, 0xffffff                               // 000000008314: 8652FF52 00FFFFFF
	s_cmp_lt_u32 s82, s66                                      // 00000000831C: BF0A4252
	s_cselect_b32 s20, s36, s60                                // 000000008320: 85143C24
	v_readlane_b32 s82, v3, 7                                  // 000000008324: D2890052 00010F03
	s_and_b32 s82, s82, 0xffffff                               // 00000000832C: 8652FF52 00FFFFFF
	s_cmp_lt_u32 s82, s66                                      // 000000008334: BF0A4252
	s_cselect_b32 s21, s36, s60                                // 000000008338: 85153C24
	s_mov_b64 exec, s[20:21]                                   // 00000000833C: BEFE0114
	global_atomic_add_f32 v6, v65, s[8:9]                      // 000000008340: DD348000 00084106
	global_atomic_add_f32 v6, v69, s[8:9] offset:256           // 000000008348: DD348100 00084506
	s_mov_b64 exec, s[36:37]                                   // 000000008350: BEFE0124
	v_mov_b32_e32 v6, v48                                      // 000000008354: 7E0C0330
	s_mov_b64 s[60:61], 0                                      // 000000008358: BEBC0180
	v_readlane_b32 s82, v3, 8                                  // 00000000835C: D2890052 00011103
	s_and_b32 s82, s82, 0xffffff                               // 000000008364: 8652FF52 00FFFFFF
	s_cmp_lt_u32 s82, s66                                      // 00000000836C: BF0A4252
	s_cselect_b32 s20, s36, s60                                // 000000008370: 85143C24
	v_readlane_b32 s82, v3, 9                                  // 000000008374: D2890052 00011303
	s_and_b32 s82, s82, 0xffffff                               // 00000000837C: 8652FF52 00FFFFFF
	s_cmp_lt_u32 s82, s66                                      // 000000008384: BF0A4252
	s_cselect_b32 s21, s36, s60                                // 000000008388: 85153C24
	s_mov_b64 exec, s[20:21]                                   // 00000000838C: BEFE0114
	global_atomic_add_f32 v6, v72, s[8:9]                      // 000000008390: DD348000 00084806
	global_atomic_add_f32 v6, v76, s[8:9] offset:256           // 000000008398: DD348100 00084C06
	s_mov_b64 exec, s[36:37]                                   // 0000000083A0: BEFE0124
	v_mov_b32_e32 v6, v49                                      // 0000000083A4: 7E0C0331
	s_mov_b64 s[60:61], 0                                      // 0000000083A8: BEBC0180
	v_readlane_b32 s82, v3, 10                                 // 0000000083AC: D2890052 00011503
	s_and_b32 s82, s82, 0xffffff                               // 0000000083B4: 8652FF52 00FFFFFF
	s_cmp_lt_u32 s82, s66                                      // 0000000083BC: BF0A4252
	s_cselect_b32 s20, s36, s60                                // 0000000083C0: 85143C24
	v_readlane_b32 s82, v3, 11                                 // 0000000083C4: D2890052 00011703
	s_and_b32 s82, s82, 0xffffff                               // 0000000083CC: 8652FF52 00FFFFFF
	s_cmp_lt_u32 s82, s66                                      // 0000000083D4: BF0A4252
	s_cselect_b32 s21, s36, s60                                // 0000000083D8: 85153C24
	s_mov_b64 exec, s[20:21]                                   // 0000000083DC: BEFE0114
	global_atomic_add_f32 v6, v73, s[8:9]                      // 0000000083E0: DD348000 00084906
	global_atomic_add_f32 v6, v77, s[8:9] offset:256           // 0000000083E8: DD348100 00084D06
	s_mov_b64 exec, s[36:37]                                   // 0000000083F0: BEFE0124
	v_mov_b32_e32 v6, v50                                      // 0000000083F4: 7E0C0332
	s_mov_b64 s[60:61], 0                                      // 0000000083F8: BEBC0180
	v_readlane_b32 s82, v3, 12                                 // 0000000083FC: D2890052 00011903
	s_and_b32 s82, s82, 0xffffff                               // 000000008404: 8652FF52 00FFFFFF
	s_cmp_lt_u32 s82, s66                                      // 00000000840C: BF0A4252
	s_cselect_b32 s20, s36, s60                                // 000000008410: 85143C24
	v_readlane_b32 s82, v3, 13                                 // 000000008414: D2890052 00011B03
	s_and_b32 s82, s82, 0xffffff                               // 00000000841C: 8652FF52 00FFFFFF
	s_cmp_lt_u32 s82, s66                                      // 000000008424: BF0A4252
	s_cselect_b32 s21, s36, s60                                // 000000008428: 85153C24
	s_mov_b64 exec, s[20:21]                                   // 00000000842C: BEFE0114
	global_atomic_add_f32 v6, v80, s[8:9]                      // 000000008430: DD348000 00085006
	global_atomic_add_f32 v6, v84, s[8:9] offset:256           // 000000008438: DD348100 00085406
	s_mov_b64 exec, s[36:37]                                   // 000000008440: BEFE0124
	v_mov_b32_e32 v6, v51                                      // 000000008444: 7E0C0333
	s_mov_b64 s[60:61], 0                                      // 000000008448: BEBC0180
	v_readlane_b32 s82, v3, 14                                 // 00000000844C: D2890052 00011D03
	s_and_b32 s82, s82, 0xffffff                               // 000000008454: 8652FF52 00FFFFFF
	s_cmp_lt_u32 s82, s66                                      // 00000000845C: BF0A4252
	s_cselect_b32 s20, s36, s60                                // 000000008460: 85143C24
	v_readlane_b32 s82, v3, 15                                 // 000000008464: D2890052 00011F03
	s_and_b32 s82, s82, 0xffffff                               // 00000000846C: 8652FF52 00FFFFFF
	s_cmp_lt_u32 s82, s66                                      // 000000008474: BF0A4252
	s_cselect_b32 s21, s36, s60                                // 000000008478: 85153C24
	s_mov_b64 exec, s[20:21]                                   // 00000000847C: BEFE0114
	global_atomic_add_f32 v6, v81, s[8:9]                      // 000000008480: DD348000 00085106
	global_atomic_add_f32 v6, v85, s[8:9] offset:256           // 000000008488: DD348100 00085506
	s_mov_b64 exec, s[36:37]                                   // 000000008490: BEFE0124
	ds_write_b64 v20, v[58:59]                                 // 000000008494: D89A0000 00003A14
	ds_write_b64 v20, v[62:63] offset:4352                     // 00000000849C: D89A1100 00003E14
	ds_write_b64 v20, v[66:67] offset:8704                     // 0000000084A4: D89A2200 00004214
	ds_write_b64 v20, v[70:71] offset:13056                    // 0000000084AC: D89A3300 00004614
	ds_write_b64 v20, v[74:75] offset:2176                     // 0000000084B4: D89A0880 00004A14
	ds_write_b64 v20, v[78:79] offset:6528                     // 0000000084BC: D89A1980 00004E14
	ds_write_b64 v20, v[82:83] offset:10880                    // 0000000084C4: D89A2A80 00005214
	ds_write_b64 v20, v[86:87] offset:15232                    // 0000000084CC: D89A3B80 00005614
	s_waitcnt lgkmcnt(0)                                       // 0000000084D4: BF8CC07F
	s_barrier                                                  // 0000000084D8: BF8A0000
	ds_read_b32 v58, v21                                       // 0000000084DC: D86C0000 3A000015
	ds_read_b32 v59, v21 offset:64                             // 0000000084E4: D86C0040 3B000015
	ds_read_b32 v62, v21 offset:2176                           // 0000000084EC: D86C0880 3E000015
	ds_read_b32 v63, v21 offset:2240                           // 0000000084F4: D86C08C0 3F000015
	ds_read_b32 v66, v21 offset:4352                           // 0000000084FC: D86C1100 42000015
	ds_read_b32 v67, v21 offset:4416                           // 000000008504: D86C1140 43000015
	ds_read_b32 v70, v21 offset:6528                           // 00000000850C: D86C1980 46000015
	ds_read_b32 v71, v21 offset:6592                           // 000000008514: D86C19C0 47000015
	ds_read_b32 v74, v21 offset:8704                           // 00000000851C: D86C2200 4A000015
	ds_read_b32 v75, v21 offset:8768                           // 000000008524: D86C2240 4B000015
	ds_read_b32 v78, v21 offset:10880                          // 00000000852C: D86C2A80 4E000015
	ds_read_b32 v79, v21 offset:10944                          // 000000008534: D86C2AC0 4F000015
	ds_read_b32 v82, v21 offset:13056                          // 00000000853C: D86C3300 52000015
	ds_read_b32 v83, v21 offset:13120                          // 000000008544: D86C3340 53000015
	ds_read_b32 v86, v21 offset:15232                          // 00000000854C: D86C3B80 56000015
	ds_read_b32 v87, v21 offset:15296                          // 000000008554: D86C3BC0 57000015
	s_waitcnt lgkmcnt(0)                                       // 00000000855C: BF8CC07F
	v_mov_b32_e32 v7, 0                                        // 000000008560: 7E0E0280
	s_mov_b64 exec, s[36:37]                                   // 000000008564: BEFE0124
	v_mov_b32_e32 v6, v44                                      // 000000008568: 7E0C032C
	s_mov_b64 s[60:61], 0                                      // 00000000856C: BEBC0180
	v_readlane_b32 s82, v3, 0                                  // 000000008570: D2890052 00010103
	s_and_b32 s82, s82, 0xffffff                               // 000000008578: 8652FF52 00FFFFFF
	s_cmp_lt_u32 s82, s66                                      // 000000008580: BF0A4252
	s_cselect_b32 s20, s36, s60                                // 000000008584: 85143C24
	v_readlane_b32 s82, v3, 1                                  // 000000008588: D2890052 00010303
	s_and_b32 s82, s82, 0xffffff                               // 000000008590: 8652FF52 00FFFFFF
	s_cmp_lt_u32 s82, s66                                      // 000000008598: BF0A4252
	s_cselect_b32 s21, s36, s60                                // 00000000859C: 85153C24
	s_mov_b64 exec, s[20:21]                                   // 0000000085A0: BEFE0114
	global_atomic_add_f32 v6, v58, s[8:9] offset:8             // 0000000085A4: DD348008 00083A06
	global_atomic_add_f32 v6, v62, s[8:9] offset:264           // 0000000085AC: DD348108 00083E06
	s_mov_b64 exec, s[36:37]                                   // 0000000085B4: BEFE0124
	v_mov_b32_e32 v6, v45                                      // 0000000085B8: 7E0C032D
	s_mov_b64 s[60:61], 0                                      // 0000000085BC: BEBC0180
	v_readlane_b32 s82, v3, 2                                  // 0000000085C0: D2890052 00010503
	s_and_b32 s82, s82, 0xffffff                               // 0000000085C8: 8652FF52 00FFFFFF
	s_cmp_lt_u32 s82, s66                                      // 0000000085D0: BF0A4252
	s_cselect_b32 s20, s36, s60                                // 0000000085D4: 85143C24
	v_readlane_b32 s82, v3, 3                                  // 0000000085D8: D2890052 00010703
	s_and_b32 s82, s82, 0xffffff                               // 0000000085E0: 8652FF52 00FFFFFF
	s_cmp_lt_u32 s82, s66                                      // 0000000085E8: BF0A4252
	s_cselect_b32 s21, s36, s60                                // 0000000085EC: 85153C24
	s_mov_b64 exec, s[20:21]                                   // 0000000085F0: BEFE0114
	global_atomic_add_f32 v6, v59, s[8:9] offset:8             // 0000000085F4: DD348008 00083B06
	global_atomic_add_f32 v6, v63, s[8:9] offset:264           // 0000000085FC: DD348108 00083F06
	s_mov_b64 exec, s[36:37]                                   // 000000008604: BEFE0124
	v_mov_b32_e32 v6, v46                                      // 000000008608: 7E0C032E
	s_mov_b64 s[60:61], 0                                      // 00000000860C: BEBC0180
	v_readlane_b32 s82, v3, 4                                  // 000000008610: D2890052 00010903
	s_and_b32 s82, s82, 0xffffff                               // 000000008618: 8652FF52 00FFFFFF
	s_cmp_lt_u32 s82, s66                                      // 000000008620: BF0A4252
	s_cselect_b32 s20, s36, s60                                // 000000008624: 85143C24
	v_readlane_b32 s82, v3, 5                                  // 000000008628: D2890052 00010B03
	s_and_b32 s82, s82, 0xffffff                               // 000000008630: 8652FF52 00FFFFFF
	s_cmp_lt_u32 s82, s66                                      // 000000008638: BF0A4252
	s_cselect_b32 s21, s36, s60                                // 00000000863C: 85153C24
	s_mov_b64 exec, s[20:21]                                   // 000000008640: BEFE0114
	global_atomic_add_f32 v6, v66, s[8:9] offset:8             // 000000008644: DD348008 00084206
	global_atomic_add_f32 v6, v70, s[8:9] offset:264           // 00000000864C: DD348108 00084606
	s_mov_b64 exec, s[36:37]                                   // 000000008654: BEFE0124
	v_mov_b32_e32 v6, v47                                      // 000000008658: 7E0C032F
	s_mov_b64 s[60:61], 0                                      // 00000000865C: BEBC0180
	v_readlane_b32 s82, v3, 6                                  // 000000008660: D2890052 00010D03
	s_and_b32 s82, s82, 0xffffff                               // 000000008668: 8652FF52 00FFFFFF
	s_cmp_lt_u32 s82, s66                                      // 000000008670: BF0A4252
	s_cselect_b32 s20, s36, s60                                // 000000008674: 85143C24
	v_readlane_b32 s82, v3, 7                                  // 000000008678: D2890052 00010F03
	s_and_b32 s82, s82, 0xffffff                               // 000000008680: 8652FF52 00FFFFFF
	s_cmp_lt_u32 s82, s66                                      // 000000008688: BF0A4252
	s_cselect_b32 s21, s36, s60                                // 00000000868C: 85153C24
	s_mov_b64 exec, s[20:21]                                   // 000000008690: BEFE0114
	global_atomic_add_f32 v6, v67, s[8:9] offset:8             // 000000008694: DD348008 00084306
	global_atomic_add_f32 v6, v71, s[8:9] offset:264           // 00000000869C: DD348108 00084706
	s_mov_b64 exec, s[36:37]                                   // 0000000086A4: BEFE0124
	v_mov_b32_e32 v6, v48                                      // 0000000086A8: 7E0C0330
	s_mov_b64 s[60:61], 0                                      // 0000000086AC: BEBC0180
	v_readlane_b32 s82, v3, 8                                  // 0000000086B0: D2890052 00011103
	s_and_b32 s82, s82, 0xffffff                               // 0000000086B8: 8652FF52 00FFFFFF
	s_cmp_lt_u32 s82, s66                                      // 0000000086C0: BF0A4252
	s_cselect_b32 s20, s36, s60                                // 0000000086C4: 85143C24
	v_readlane_b32 s82, v3, 9                                  // 0000000086C8: D2890052 00011303
	s_and_b32 s82, s82, 0xffffff                               // 0000000086D0: 8652FF52 00FFFFFF
	s_cmp_lt_u32 s82, s66                                      // 0000000086D8: BF0A4252
	s_cselect_b32 s21, s36, s60                                // 0000000086DC: 85153C24
	s_mov_b64 exec, s[20:21]                                   // 0000000086E0: BEFE0114
	global_atomic_add_f32 v6, v74, s[8:9] offset:8             // 0000000086E4: DD348008 00084A06
	global_atomic_add_f32 v6, v78, s[8:9] offset:264           // 0000000086EC: DD348108 00084E06
	s_mov_b64 exec, s[36:37]                                   // 0000000086F4: BEFE0124
	v_mov_b32_e32 v6, v49                                      // 0000000086F8: 7E0C0331
	s_mov_b64 s[60:61], 0                                      // 0000000086FC: BEBC0180
	v_readlane_b32 s82, v3, 10                                 // 000000008700: D2890052 00011503
	s_and_b32 s82, s82, 0xffffff                               // 000000008708: 8652FF52 00FFFFFF
	s_cmp_lt_u32 s82, s66                                      // 000000008710: BF0A4252
	s_cselect_b32 s20, s36, s60                                // 000000008714: 85143C24
	v_readlane_b32 s82, v3, 11                                 // 000000008718: D2890052 00011703
	s_and_b32 s82, s82, 0xffffff                               // 000000008720: 8652FF52 00FFFFFF
	s_cmp_lt_u32 s82, s66                                      // 000000008728: BF0A4252
	s_cselect_b32 s21, s36, s60                                // 00000000872C: 85153C24
	s_mov_b64 exec, s[20:21]                                   // 000000008730: BEFE0114
	global_atomic_add_f32 v6, v75, s[8:9] offset:8             // 000000008734: DD348008 00084B06
	global_atomic_add_f32 v6, v79, s[8:9] offset:264           // 00000000873C: DD348108 00084F06
	s_mov_b64 exec, s[36:37]                                   // 000000008744: BEFE0124
	v_mov_b32_e32 v6, v50                                      // 000000008748: 7E0C0332
	s_mov_b64 s[60:61], 0                                      // 00000000874C: BEBC0180
	v_readlane_b32 s82, v3, 12                                 // 000000008750: D2890052 00011903
	s_and_b32 s82, s82, 0xffffff                               // 000000008758: 8652FF52 00FFFFFF
	s_cmp_lt_u32 s82, s66                                      // 000000008760: BF0A4252
	s_cselect_b32 s20, s36, s60                                // 000000008764: 85143C24
	v_readlane_b32 s82, v3, 13                                 // 000000008768: D2890052 00011B03
	s_and_b32 s82, s82, 0xffffff                               // 000000008770: 8652FF52 00FFFFFF
	s_cmp_lt_u32 s82, s66                                      // 000000008778: BF0A4252
	s_cselect_b32 s21, s36, s60                                // 00000000877C: 85153C24
	s_mov_b64 exec, s[20:21]                                   // 000000008780: BEFE0114
	global_atomic_add_f32 v6, v82, s[8:9] offset:8             // 000000008784: DD348008 00085206
	global_atomic_add_f32 v6, v86, s[8:9] offset:264           // 00000000878C: DD348108 00085606
	s_mov_b64 exec, s[36:37]                                   // 000000008794: BEFE0124
	v_mov_b32_e32 v6, v51                                      // 000000008798: 7E0C0333
	s_mov_b64 s[60:61], 0                                      // 00000000879C: BEBC0180
	v_readlane_b32 s82, v3, 14                                 // 0000000087A0: D2890052 00011D03
	s_and_b32 s82, s82, 0xffffff                               // 0000000087A8: 8652FF52 00FFFFFF
	s_cmp_lt_u32 s82, s66                                      // 0000000087B0: BF0A4252
	s_cselect_b32 s20, s36, s60                                // 0000000087B4: 85143C24
	v_readlane_b32 s82, v3, 15                                 // 0000000087B8: D2890052 00011F03
	s_and_b32 s82, s82, 0xffffff                               // 0000000087C0: 8652FF52 00FFFFFF
	s_cmp_lt_u32 s82, s66                                      // 0000000087C8: BF0A4252
	s_cselect_b32 s21, s36, s60                                // 0000000087CC: 85153C24
	s_mov_b64 exec, s[20:21]                                   // 0000000087D0: BEFE0114
	global_atomic_add_f32 v6, v83, s[8:9] offset:8             // 0000000087D4: DD348008 00085306
	global_atomic_add_f32 v6, v87, s[8:9] offset:264           // 0000000087DC: DD348108 00085706
	s_mov_b64 exec, s[36:37]                                   // 0000000087E4: BEFE0124
	ds_write_b64 v20, v[88:89]                                 // 0000000087E8: D89A0000 00005814
	ds_write_b64 v20, v[92:93] offset:4352                     // 0000000087F0: D89A1100 00005C14
	ds_write_b64 v20, v[96:97] offset:8704                     // 0000000087F8: D89A2200 00006014
	ds_write_b64 v20, v[100:101] offset:13056                  // 000000008800: D89A3300 00006414
	ds_write_b64 v20, v[104:105] offset:2176                   // 000000008808: D89A0880 00006814
	ds_write_b64 v20, v[108:109] offset:6528                   // 000000008810: D89A1980 00006C14
	ds_write_b64 v20, v[112:113] offset:10880                  // 000000008818: D89A2A80 00007014
	ds_write_b64 v20, v[116:117] offset:15232                  // 000000008820: D89A3B80 00007414
	s_waitcnt lgkmcnt(0)                                       // 000000008828: BF8CC07F
	s_barrier                                                  // 00000000882C: BF8A0000
	ds_read_b32 v88, v21                                       // 000000008830: D86C0000 58000015
	ds_read_b32 v89, v21 offset:64                             // 000000008838: D86C0040 59000015
	ds_read_b32 v92, v21 offset:2176                           // 000000008840: D86C0880 5C000015
	ds_read_b32 v93, v21 offset:2240                           // 000000008848: D86C08C0 5D000015
	ds_read_b32 v96, v21 offset:4352                           // 000000008850: D86C1100 60000015
	ds_read_b32 v97, v21 offset:4416                           // 000000008858: D86C1140 61000015
	ds_read_b32 v100, v21 offset:6528                          // 000000008860: D86C1980 64000015
	ds_read_b32 v101, v21 offset:6592                          // 000000008868: D86C19C0 65000015
	ds_read_b32 v104, v21 offset:8704                          // 000000008870: D86C2200 68000015
	ds_read_b32 v105, v21 offset:8768                          // 000000008878: D86C2240 69000015
	ds_read_b32 v108, v21 offset:10880                         // 000000008880: D86C2A80 6C000015
	ds_read_b32 v109, v21 offset:10944                         // 000000008888: D86C2AC0 6D000015
	ds_read_b32 v112, v21 offset:13056                         // 000000008890: D86C3300 70000015
	ds_read_b32 v113, v21 offset:13120                         // 000000008898: D86C3340 71000015
	ds_read_b32 v116, v21 offset:15232                         // 0000000088A0: D86C3B80 74000015
	ds_read_b32 v117, v21 offset:15296                         // 0000000088A8: D86C3BC0 75000015
	s_mul_i32 s60, s65, 4                                      // 0000000088B0: 923C8441
	s_add_u32 s8, s60, s8                                      // 0000000088B4: 8008083C
	s_addc_u32 s9, 0, s9                                       // 0000000088B8: 82090980
	s_waitcnt lgkmcnt(0)                                       // 0000000088BC: BF8CC07F
	v_mov_b32_e32 v7, 0                                        // 0000000088C0: 7E0E0280
	s_mov_b64 exec, s[36:37]                                   // 0000000088C4: BEFE0124
	v_mov_b32_e32 v6, v44                                      // 0000000088C8: 7E0C032C
	s_mov_b64 s[60:61], 0                                      // 0000000088CC: BEBC0180
	v_readlane_b32 s82, v3, 0                                  // 0000000088D0: D2890052 00010103
	s_and_b32 s82, s82, 0xffffff                               // 0000000088D8: 8652FF52 00FFFFFF
	s_cmp_lt_u32 s82, s66                                      // 0000000088E0: BF0A4252
	s_cselect_b32 s20, s36, s60                                // 0000000088E4: 85143C24
	v_readlane_b32 s82, v3, 1                                  // 0000000088E8: D2890052 00010303
	s_and_b32 s82, s82, 0xffffff                               // 0000000088F0: 8652FF52 00FFFFFF
	s_cmp_lt_u32 s82, s66                                      // 0000000088F8: BF0A4252
	s_cselect_b32 s21, s36, s60                                // 0000000088FC: 85153C24
	s_mov_b64 exec, s[20:21]                                   // 000000008900: BEFE0114
	global_atomic_add_f32 v6, v88, s[8:9]                      // 000000008904: DD348000 00085806
	global_atomic_add_f32 v6, v92, s[8:9] offset:256           // 00000000890C: DD348100 00085C06
	s_mov_b64 exec, s[36:37]                                   // 000000008914: BEFE0124
	v_mov_b32_e32 v6, v45                                      // 000000008918: 7E0C032D
	s_mov_b64 s[60:61], 0                                      // 00000000891C: BEBC0180
	v_readlane_b32 s82, v3, 2                                  // 000000008920: D2890052 00010503
	s_and_b32 s82, s82, 0xffffff                               // 000000008928: 8652FF52 00FFFFFF
	s_cmp_lt_u32 s82, s66                                      // 000000008930: BF0A4252
	s_cselect_b32 s20, s36, s60                                // 000000008934: 85143C24
	v_readlane_b32 s82, v3, 3                                  // 000000008938: D2890052 00010703
	s_and_b32 s82, s82, 0xffffff                               // 000000008940: 8652FF52 00FFFFFF
	s_cmp_lt_u32 s82, s66                                      // 000000008948: BF0A4252
	s_cselect_b32 s21, s36, s60                                // 00000000894C: 85153C24
	s_mov_b64 exec, s[20:21]                                   // 000000008950: BEFE0114
	global_atomic_add_f32 v6, v89, s[8:9]                      // 000000008954: DD348000 00085906
	global_atomic_add_f32 v6, v93, s[8:9] offset:256           // 00000000895C: DD348100 00085D06
	s_mov_b64 exec, s[36:37]                                   // 000000008964: BEFE0124
	v_mov_b32_e32 v6, v46                                      // 000000008968: 7E0C032E
	s_mov_b64 s[60:61], 0                                      // 00000000896C: BEBC0180
	v_readlane_b32 s82, v3, 4                                  // 000000008970: D2890052 00010903
	s_and_b32 s82, s82, 0xffffff                               // 000000008978: 8652FF52 00FFFFFF
	s_cmp_lt_u32 s82, s66                                      // 000000008980: BF0A4252
	s_cselect_b32 s20, s36, s60                                // 000000008984: 85143C24
	v_readlane_b32 s82, v3, 5                                  // 000000008988: D2890052 00010B03
	s_and_b32 s82, s82, 0xffffff                               // 000000008990: 8652FF52 00FFFFFF
	s_cmp_lt_u32 s82, s66                                      // 000000008998: BF0A4252
	s_cselect_b32 s21, s36, s60                                // 00000000899C: 85153C24
	s_mov_b64 exec, s[20:21]                                   // 0000000089A0: BEFE0114
	global_atomic_add_f32 v6, v96, s[8:9]                      // 0000000089A4: DD348000 00086006
	global_atomic_add_f32 v6, v100, s[8:9] offset:256          // 0000000089AC: DD348100 00086406
	s_mov_b64 exec, s[36:37]                                   // 0000000089B4: BEFE0124
	v_mov_b32_e32 v6, v47                                      // 0000000089B8: 7E0C032F
	s_mov_b64 s[60:61], 0                                      // 0000000089BC: BEBC0180
	v_readlane_b32 s82, v3, 6                                  // 0000000089C0: D2890052 00010D03
	s_and_b32 s82, s82, 0xffffff                               // 0000000089C8: 8652FF52 00FFFFFF
	s_cmp_lt_u32 s82, s66                                      // 0000000089D0: BF0A4252
	s_cselect_b32 s20, s36, s60                                // 0000000089D4: 85143C24
	v_readlane_b32 s82, v3, 7                                  // 0000000089D8: D2890052 00010F03
	s_and_b32 s82, s82, 0xffffff                               // 0000000089E0: 8652FF52 00FFFFFF
	s_cmp_lt_u32 s82, s66                                      // 0000000089E8: BF0A4252
	s_cselect_b32 s21, s36, s60                                // 0000000089EC: 85153C24
	s_mov_b64 exec, s[20:21]                                   // 0000000089F0: BEFE0114
	global_atomic_add_f32 v6, v97, s[8:9]                      // 0000000089F4: DD348000 00086106
	global_atomic_add_f32 v6, v101, s[8:9] offset:256          // 0000000089FC: DD348100 00086506
	s_mov_b64 exec, s[36:37]                                   // 000000008A04: BEFE0124
	v_mov_b32_e32 v6, v48                                      // 000000008A08: 7E0C0330
	s_mov_b64 s[60:61], 0                                      // 000000008A0C: BEBC0180
	v_readlane_b32 s82, v3, 8                                  // 000000008A10: D2890052 00011103
	s_and_b32 s82, s82, 0xffffff                               // 000000008A18: 8652FF52 00FFFFFF
	s_cmp_lt_u32 s82, s66                                      // 000000008A20: BF0A4252
	s_cselect_b32 s20, s36, s60                                // 000000008A24: 85143C24
	v_readlane_b32 s82, v3, 9                                  // 000000008A28: D2890052 00011303
	s_and_b32 s82, s82, 0xffffff                               // 000000008A30: 8652FF52 00FFFFFF
	s_cmp_lt_u32 s82, s66                                      // 000000008A38: BF0A4252
	s_cselect_b32 s21, s36, s60                                // 000000008A3C: 85153C24
	s_mov_b64 exec, s[20:21]                                   // 000000008A40: BEFE0114
	global_atomic_add_f32 v6, v104, s[8:9]                     // 000000008A44: DD348000 00086806
	global_atomic_add_f32 v6, v108, s[8:9] offset:256          // 000000008A4C: DD348100 00086C06
	s_mov_b64 exec, s[36:37]                                   // 000000008A54: BEFE0124
	v_mov_b32_e32 v6, v49                                      // 000000008A58: 7E0C0331
	s_mov_b64 s[60:61], 0                                      // 000000008A5C: BEBC0180
	v_readlane_b32 s82, v3, 10                                 // 000000008A60: D2890052 00011503
	s_and_b32 s82, s82, 0xffffff                               // 000000008A68: 8652FF52 00FFFFFF
	s_cmp_lt_u32 s82, s66                                      // 000000008A70: BF0A4252
	s_cselect_b32 s20, s36, s60                                // 000000008A74: 85143C24
	v_readlane_b32 s82, v3, 11                                 // 000000008A78: D2890052 00011703
	s_and_b32 s82, s82, 0xffffff                               // 000000008A80: 8652FF52 00FFFFFF
	s_cmp_lt_u32 s82, s66                                      // 000000008A88: BF0A4252
	s_cselect_b32 s21, s36, s60                                // 000000008A8C: 85153C24
	s_mov_b64 exec, s[20:21]                                   // 000000008A90: BEFE0114
	global_atomic_add_f32 v6, v105, s[8:9]                     // 000000008A94: DD348000 00086906
	global_atomic_add_f32 v6, v109, s[8:9] offset:256          // 000000008A9C: DD348100 00086D06
	s_mov_b64 exec, s[36:37]                                   // 000000008AA4: BEFE0124
	v_mov_b32_e32 v6, v50                                      // 000000008AA8: 7E0C0332
	s_mov_b64 s[60:61], 0                                      // 000000008AAC: BEBC0180
	v_readlane_b32 s82, v3, 12                                 // 000000008AB0: D2890052 00011903
	s_and_b32 s82, s82, 0xffffff                               // 000000008AB8: 8652FF52 00FFFFFF
	s_cmp_lt_u32 s82, s66                                      // 000000008AC0: BF0A4252
	s_cselect_b32 s20, s36, s60                                // 000000008AC4: 85143C24
	v_readlane_b32 s82, v3, 13                                 // 000000008AC8: D2890052 00011B03
	s_and_b32 s82, s82, 0xffffff                               // 000000008AD0: 8652FF52 00FFFFFF
	s_cmp_lt_u32 s82, s66                                      // 000000008AD8: BF0A4252
	s_cselect_b32 s21, s36, s60                                // 000000008ADC: 85153C24
	s_mov_b64 exec, s[20:21]                                   // 000000008AE0: BEFE0114
	global_atomic_add_f32 v6, v112, s[8:9]                     // 000000008AE4: DD348000 00087006
	global_atomic_add_f32 v6, v116, s[8:9] offset:256          // 000000008AEC: DD348100 00087406
	s_mov_b64 exec, s[36:37]                                   // 000000008AF4: BEFE0124
	v_mov_b32_e32 v6, v51                                      // 000000008AF8: 7E0C0333
	s_mov_b64 s[60:61], 0                                      // 000000008AFC: BEBC0180
	v_readlane_b32 s82, v3, 14                                 // 000000008B00: D2890052 00011D03
	s_and_b32 s82, s82, 0xffffff                               // 000000008B08: 8652FF52 00FFFFFF
	s_cmp_lt_u32 s82, s66                                      // 000000008B10: BF0A4252
	s_cselect_b32 s20, s36, s60                                // 000000008B14: 85143C24
	v_readlane_b32 s82, v3, 15                                 // 000000008B18: D2890052 00011F03
	s_and_b32 s82, s82, 0xffffff                               // 000000008B20: 8652FF52 00FFFFFF
	s_cmp_lt_u32 s82, s66                                      // 000000008B28: BF0A4252
	s_cselect_b32 s21, s36, s60                                // 000000008B2C: 85153C24
	s_mov_b64 exec, s[20:21]                                   // 000000008B30: BEFE0114
	global_atomic_add_f32 v6, v113, s[8:9]                     // 000000008B34: DD348000 00087106
	global_atomic_add_f32 v6, v117, s[8:9] offset:256          // 000000008B3C: DD348100 00087506
	s_mov_b64 exec, s[36:37]                                   // 000000008B44: BEFE0124
	ds_write_b64 v20, v[90:91]                                 // 000000008B48: D89A0000 00005A14
	ds_write_b64 v20, v[94:95] offset:4352                     // 000000008B50: D89A1100 00005E14
	ds_write_b64 v20, v[98:99] offset:8704                     // 000000008B58: D89A2200 00006214
	ds_write_b64 v20, v[102:103] offset:13056                  // 000000008B60: D89A3300 00006614
	ds_write_b64 v20, v[106:107] offset:2176                   // 000000008B68: D89A0880 00006A14
	ds_write_b64 v20, v[110:111] offset:6528                   // 000000008B70: D89A1980 00006E14
	ds_write_b64 v20, v[114:115] offset:10880                  // 000000008B78: D89A2A80 00007214
	ds_write_b64 v20, v[118:119] offset:15232                  // 000000008B80: D89A3B80 00007614
	s_waitcnt lgkmcnt(0)                                       // 000000008B88: BF8CC07F
	s_barrier                                                  // 000000008B8C: BF8A0000
	ds_read_b32 v90, v21                                       // 000000008B90: D86C0000 5A000015
	ds_read_b32 v91, v21 offset:64                             // 000000008B98: D86C0040 5B000015
	ds_read_b32 v94, v21 offset:2176                           // 000000008BA0: D86C0880 5E000015
	ds_read_b32 v95, v21 offset:2240                           // 000000008BA8: D86C08C0 5F000015
	ds_read_b32 v98, v21 offset:4352                           // 000000008BB0: D86C1100 62000015
	ds_read_b32 v99, v21 offset:4416                           // 000000008BB8: D86C1140 63000015
	ds_read_b32 v102, v21 offset:6528                          // 000000008BC0: D86C1980 66000015
	ds_read_b32 v103, v21 offset:6592                          // 000000008BC8: D86C19C0 67000015
	ds_read_b32 v106, v21 offset:8704                          // 000000008BD0: D86C2200 6A000015
	ds_read_b32 v107, v21 offset:8768                          // 000000008BD8: D86C2240 6B000015
	ds_read_b32 v110, v21 offset:10880                         // 000000008BE0: D86C2A80 6E000015
	ds_read_b32 v111, v21 offset:10944                         // 000000008BE8: D86C2AC0 6F000015
	ds_read_b32 v114, v21 offset:13056                         // 000000008BF0: D86C3300 72000015
	ds_read_b32 v115, v21 offset:13120                         // 000000008BF8: D86C3340 73000015
	ds_read_b32 v118, v21 offset:15232                         // 000000008C00: D86C3B80 76000015
	ds_read_b32 v119, v21 offset:15296                         // 000000008C08: D86C3BC0 77000015
	s_waitcnt lgkmcnt(0)                                       // 000000008C10: BF8CC07F
	v_mov_b32_e32 v7, 0                                        // 000000008C14: 7E0E0280
	s_mov_b64 exec, s[36:37]                                   // 000000008C18: BEFE0124
	v_mov_b32_e32 v6, v44                                      // 000000008C1C: 7E0C032C
	s_mov_b64 s[60:61], 0                                      // 000000008C20: BEBC0180
	v_readlane_b32 s82, v3, 0                                  // 000000008C24: D2890052 00010103
	s_and_b32 s82, s82, 0xffffff                               // 000000008C2C: 8652FF52 00FFFFFF
	s_cmp_lt_u32 s82, s66                                      // 000000008C34: BF0A4252
	s_cselect_b32 s20, s36, s60                                // 000000008C38: 85143C24
	v_readlane_b32 s82, v3, 1                                  // 000000008C3C: D2890052 00010303
	s_and_b32 s82, s82, 0xffffff                               // 000000008C44: 8652FF52 00FFFFFF
	s_cmp_lt_u32 s82, s66                                      // 000000008C4C: BF0A4252
	s_cselect_b32 s21, s36, s60                                // 000000008C50: 85153C24
	s_mov_b64 exec, s[20:21]                                   // 000000008C54: BEFE0114
	global_atomic_add_f32 v6, v90, s[8:9] offset:8             // 000000008C58: DD348008 00085A06
	global_atomic_add_f32 v6, v94, s[8:9] offset:264           // 000000008C60: DD348108 00085E06
	s_mov_b64 exec, s[36:37]                                   // 000000008C68: BEFE0124
	v_mov_b32_e32 v6, v45                                      // 000000008C6C: 7E0C032D
	s_mov_b64 s[60:61], 0                                      // 000000008C70: BEBC0180
	v_readlane_b32 s82, v3, 2                                  // 000000008C74: D2890052 00010503
	s_and_b32 s82, s82, 0xffffff                               // 000000008C7C: 8652FF52 00FFFFFF
	s_cmp_lt_u32 s82, s66                                      // 000000008C84: BF0A4252
	s_cselect_b32 s20, s36, s60                                // 000000008C88: 85143C24
	v_readlane_b32 s82, v3, 3                                  // 000000008C8C: D2890052 00010703
	s_and_b32 s82, s82, 0xffffff                               // 000000008C94: 8652FF52 00FFFFFF
	s_cmp_lt_u32 s82, s66                                      // 000000008C9C: BF0A4252
	s_cselect_b32 s21, s36, s60                                // 000000008CA0: 85153C24
	s_mov_b64 exec, s[20:21]                                   // 000000008CA4: BEFE0114
	global_atomic_add_f32 v6, v91, s[8:9] offset:8             // 000000008CA8: DD348008 00085B06
	global_atomic_add_f32 v6, v95, s[8:9] offset:264           // 000000008CB0: DD348108 00085F06
	s_mov_b64 exec, s[36:37]                                   // 000000008CB8: BEFE0124
	v_mov_b32_e32 v6, v46                                      // 000000008CBC: 7E0C032E
	s_mov_b64 s[60:61], 0                                      // 000000008CC0: BEBC0180
	v_readlane_b32 s82, v3, 4                                  // 000000008CC4: D2890052 00010903
	s_and_b32 s82, s82, 0xffffff                               // 000000008CCC: 8652FF52 00FFFFFF
	s_cmp_lt_u32 s82, s66                                      // 000000008CD4: BF0A4252
	s_cselect_b32 s20, s36, s60                                // 000000008CD8: 85143C24
	v_readlane_b32 s82, v3, 5                                  // 000000008CDC: D2890052 00010B03
	s_and_b32 s82, s82, 0xffffff                               // 000000008CE4: 8652FF52 00FFFFFF
	s_cmp_lt_u32 s82, s66                                      // 000000008CEC: BF0A4252
	s_cselect_b32 s21, s36, s60                                // 000000008CF0: 85153C24
	s_mov_b64 exec, s[20:21]                                   // 000000008CF4: BEFE0114
	global_atomic_add_f32 v6, v98, s[8:9] offset:8             // 000000008CF8: DD348008 00086206
	global_atomic_add_f32 v6, v102, s[8:9] offset:264          // 000000008D00: DD348108 00086606
	s_mov_b64 exec, s[36:37]                                   // 000000008D08: BEFE0124
	v_mov_b32_e32 v6, v47                                      // 000000008D0C: 7E0C032F
	s_mov_b64 s[60:61], 0                                      // 000000008D10: BEBC0180
	v_readlane_b32 s82, v3, 6                                  // 000000008D14: D2890052 00010D03
	s_and_b32 s82, s82, 0xffffff                               // 000000008D1C: 8652FF52 00FFFFFF
	s_cmp_lt_u32 s82, s66                                      // 000000008D24: BF0A4252
	s_cselect_b32 s20, s36, s60                                // 000000008D28: 85143C24
	v_readlane_b32 s82, v3, 7                                  // 000000008D2C: D2890052 00010F03
	s_and_b32 s82, s82, 0xffffff                               // 000000008D34: 8652FF52 00FFFFFF
	s_cmp_lt_u32 s82, s66                                      // 000000008D3C: BF0A4252
	s_cselect_b32 s21, s36, s60                                // 000000008D40: 85153C24
	s_mov_b64 exec, s[20:21]                                   // 000000008D44: BEFE0114
	global_atomic_add_f32 v6, v99, s[8:9] offset:8             // 000000008D48: DD348008 00086306
	global_atomic_add_f32 v6, v103, s[8:9] offset:264          // 000000008D50: DD348108 00086706
	s_mov_b64 exec, s[36:37]                                   // 000000008D58: BEFE0124
	v_mov_b32_e32 v6, v48                                      // 000000008D5C: 7E0C0330
	s_mov_b64 s[60:61], 0                                      // 000000008D60: BEBC0180
	v_readlane_b32 s82, v3, 8                                  // 000000008D64: D2890052 00011103
	s_and_b32 s82, s82, 0xffffff                               // 000000008D6C: 8652FF52 00FFFFFF
	s_cmp_lt_u32 s82, s66                                      // 000000008D74: BF0A4252
	s_cselect_b32 s20, s36, s60                                // 000000008D78: 85143C24
	v_readlane_b32 s82, v3, 9                                  // 000000008D7C: D2890052 00011303
	s_and_b32 s82, s82, 0xffffff                               // 000000008D84: 8652FF52 00FFFFFF
	s_cmp_lt_u32 s82, s66                                      // 000000008D8C: BF0A4252
	s_cselect_b32 s21, s36, s60                                // 000000008D90: 85153C24
	s_mov_b64 exec, s[20:21]                                   // 000000008D94: BEFE0114
	global_atomic_add_f32 v6, v106, s[8:9] offset:8            // 000000008D98: DD348008 00086A06
	global_atomic_add_f32 v6, v110, s[8:9] offset:264          // 000000008DA0: DD348108 00086E06
	s_mov_b64 exec, s[36:37]                                   // 000000008DA8: BEFE0124
	v_mov_b32_e32 v6, v49                                      // 000000008DAC: 7E0C0331
	s_mov_b64 s[60:61], 0                                      // 000000008DB0: BEBC0180
	v_readlane_b32 s82, v3, 10                                 // 000000008DB4: D2890052 00011503
	s_and_b32 s82, s82, 0xffffff                               // 000000008DBC: 8652FF52 00FFFFFF
	s_cmp_lt_u32 s82, s66                                      // 000000008DC4: BF0A4252
	s_cselect_b32 s20, s36, s60                                // 000000008DC8: 85143C24
	v_readlane_b32 s82, v3, 11                                 // 000000008DCC: D2890052 00011703
	s_and_b32 s82, s82, 0xffffff                               // 000000008DD4: 8652FF52 00FFFFFF
	s_cmp_lt_u32 s82, s66                                      // 000000008DDC: BF0A4252
	s_cselect_b32 s21, s36, s60                                // 000000008DE0: 85153C24
	s_mov_b64 exec, s[20:21]                                   // 000000008DE4: BEFE0114
	global_atomic_add_f32 v6, v107, s[8:9] offset:8            // 000000008DE8: DD348008 00086B06
	global_atomic_add_f32 v6, v111, s[8:9] offset:264          // 000000008DF0: DD348108 00086F06
	s_mov_b64 exec, s[36:37]                                   // 000000008DF8: BEFE0124
	v_mov_b32_e32 v6, v50                                      // 000000008DFC: 7E0C0332
	s_mov_b64 s[60:61], 0                                      // 000000008E00: BEBC0180
	v_readlane_b32 s82, v3, 12                                 // 000000008E04: D2890052 00011903
	s_and_b32 s82, s82, 0xffffff                               // 000000008E0C: 8652FF52 00FFFFFF
	s_cmp_lt_u32 s82, s66                                      // 000000008E14: BF0A4252
	s_cselect_b32 s20, s36, s60                                // 000000008E18: 85143C24
	v_readlane_b32 s82, v3, 13                                 // 000000008E1C: D2890052 00011B03
	s_and_b32 s82, s82, 0xffffff                               // 000000008E24: 8652FF52 00FFFFFF
	s_cmp_lt_u32 s82, s66                                      // 000000008E2C: BF0A4252
	s_cselect_b32 s21, s36, s60                                // 000000008E30: 85153C24
	s_mov_b64 exec, s[20:21]                                   // 000000008E34: BEFE0114
	global_atomic_add_f32 v6, v114, s[8:9] offset:8            // 000000008E38: DD348008 00087206
	global_atomic_add_f32 v6, v118, s[8:9] offset:264          // 000000008E40: DD348108 00087606
	s_mov_b64 exec, s[36:37]                                   // 000000008E48: BEFE0124
	v_mov_b32_e32 v6, v51                                      // 000000008E4C: 7E0C0333
	s_mov_b64 s[60:61], 0                                      // 000000008E50: BEBC0180
	v_readlane_b32 s82, v3, 14                                 // 000000008E54: D2890052 00011D03
	s_and_b32 s82, s82, 0xffffff                               // 000000008E5C: 8652FF52 00FFFFFF
	s_cmp_lt_u32 s82, s66                                      // 000000008E64: BF0A4252
	s_cselect_b32 s20, s36, s60                                // 000000008E68: 85143C24
	v_readlane_b32 s82, v3, 15                                 // 000000008E6C: D2890052 00011F03
	s_and_b32 s82, s82, 0xffffff                               // 000000008E74: 8652FF52 00FFFFFF
	s_cmp_lt_u32 s82, s66                                      // 000000008E7C: BF0A4252
	s_cselect_b32 s21, s36, s60                                // 000000008E80: 85153C24
	s_mov_b64 exec, s[20:21]                                   // 000000008E84: BEFE0114
	global_atomic_add_f32 v6, v115, s[8:9] offset:8            // 000000008E88: DD348008 00087306
	global_atomic_add_f32 v6, v119, s[8:9] offset:264          // 000000008E90: DD348108 00087706
	s_mov_b64 exec, s[36:37]                                   // 000000008E98: BEFE0124
	s_branch label_192B                                        // 000000008E9C: BF820000

0000000000008ea0 <label_192B>:
	s_waitcnt vmcnt(0) expcnt(0) lgkmcnt(0)                    // 000000008EA0: BF8C0000
	s_endpgm                                                   // 000000008EA4: BF810000
